;; amdgpu-corpus repo=ROCm/rocFFT kind=compiled arch=gfx1030 opt=O3
	.text
	.amdgcn_target "amdgcn-amd-amdhsa--gfx1030"
	.amdhsa_code_object_version 6
	.protected	bluestein_single_fwd_len1764_dim1_half_op_CI_CI ; -- Begin function bluestein_single_fwd_len1764_dim1_half_op_CI_CI
	.globl	bluestein_single_fwd_len1764_dim1_half_op_CI_CI
	.p2align	8
	.type	bluestein_single_fwd_len1764_dim1_half_op_CI_CI,@function
bluestein_single_fwd_len1764_dim1_half_op_CI_CI: ; @bluestein_single_fwd_len1764_dim1_half_op_CI_CI
; %bb.0:
	s_load_dwordx4 s[8:11], s[4:5], 0x28
	v_mul_u32_u24_e32 v1, 0x209, v0
	v_mov_b32_e32 v17, 0
	s_mov_b32 s0, exec_lo
	v_lshrrev_b32_e32 v1, 16, v1
	v_add_nc_u32_e32 v16, s6, v1
	s_waitcnt lgkmcnt(0)
	v_cmpx_gt_u64_e64 s[8:9], v[16:17]
	s_cbranch_execz .LBB0_18
; %bb.1:
	s_clause 0x1
	s_load_dwordx4 s[0:3], s[4:5], 0x18
	s_load_dwordx4 s[12:15], s[4:5], 0x0
	v_mul_lo_u16 v1, 0x7e, v1
	v_sub_nc_u16 v17, v0, v1
	v_and_b32_e32 v60, 0xffff, v17
	v_lshlrev_b32_e32 v64, 2, v60
	v_lshlrev_b32_e32 v27, 1, v60
	v_and_b32_e32 v33, 1, v60
	s_waitcnt lgkmcnt(0)
	s_load_dwordx4 s[16:19], s[0:1], 0x0
	v_lshlrev_b32_e32 v38, 3, v60
	v_add_co_u32 v11, s0, s12, v64
	v_add_co_ci_u32_e64 v12, null, s13, 0, s0
	v_add_nc_u32_e32 v28, 0xe00, v64
	v_add_nc_u32_e32 v30, 0xa00, v64
	;; [unrolled: 1-line block ×3, first 2 shown]
	s_waitcnt lgkmcnt(0)
	v_mad_u64_u32 v[0:1], null, s18, v16, 0
	v_mad_u64_u32 v[2:3], null, s16, v60, 0
	s_mul_i32 s1, s17, 0xdc8
	s_mul_hi_u32 s6, s16, 0xdc8
	s_mul_i32 s0, s16, 0xdc8
	s_add_i32 s6, s6, s1
	s_mul_hi_u32 s8, s16, 0xfffff430
	s_mul_i32 s7, s17, 0xfffff430
	v_mad_u64_u32 v[4:5], null, s19, v16, v[1:2]
	v_add_co_u32 v5, vcc_lo, 0x800, v11
	v_add_co_ci_u32_e32 v6, vcc_lo, 0, v12, vcc_lo
	s_mul_i32 s9, s16, 0xfffff430
	s_sub_i32 s1, s8, s16
	v_mad_u64_u32 v[7:8], null, s17, v60, v[3:4]
	v_mov_b32_e32 v1, v4
	s_add_i32 s1, s1, s7
	s_clause 0x1
	global_load_dword v63, v64, s[12:13]
	global_load_dword v62, v[5:6], off offset:1480
	v_lshlrev_b64 v[0:1], 2, v[0:1]
	v_mov_b32_e32 v3, v7
	v_add_co_u32 v0, vcc_lo, s10, v0
	v_lshlrev_b64 v[2:3], 2, v[2:3]
	v_add_co_ci_u32_e32 v1, vcc_lo, s11, v1, vcc_lo
	v_add_co_u32 v0, vcc_lo, v0, v2
	v_add_co_ci_u32_e32 v1, vcc_lo, v1, v3, vcc_lo
	v_add_co_u32 v2, vcc_lo, v0, s0
	v_add_co_ci_u32_e32 v3, vcc_lo, s6, v1, vcc_lo
	s_clause 0x1
	global_load_dword v4, v[0:1], off
	global_load_dword v15, v[2:3], off
	v_add_co_u32 v7, vcc_lo, v2, s9
	v_add_co_ci_u32_e32 v8, vcc_lo, s1, v3, vcc_lo
	v_add_co_u32 v0, vcc_lo, v7, s0
	v_add_co_ci_u32_e32 v1, vcc_lo, s6, v8, vcc_lo
	s_clause 0x4
	global_load_dword v61, v64, s[12:13] offset:504
	global_load_dword v58, v64, s[12:13] offset:1008
	;; [unrolled: 1-line block ×4, first 2 shown]
	global_load_dword v59, v[5:6], off offset:1984
	s_clause 0x1
	global_load_dword v18, v[7:8], off
	global_load_dword v19, v[0:1], off
	v_add_co_u32 v0, vcc_lo, v0, s9
	v_add_co_ci_u32_e32 v1, vcc_lo, s1, v1, vcc_lo
	v_add_co_u32 v2, vcc_lo, 0x1000, v11
	v_add_co_ci_u32_e32 v3, vcc_lo, 0, v12, vcc_lo
	global_load_dword v20, v[0:1], off
	v_add_co_u32 v0, vcc_lo, v0, s0
	v_add_co_ci_u32_e32 v1, vcc_lo, s6, v1, vcc_lo
	s_clause 0x1
	global_load_dword v57, v[2:3], off offset:440
	global_load_dword v55, v[2:3], off offset:944
	v_add_co_u32 v7, vcc_lo, v0, s9
	v_add_co_ci_u32_e32 v8, vcc_lo, s1, v1, vcc_lo
	global_load_dword v21, v[0:1], off
	v_add_co_u32 v0, vcc_lo, v7, s0
	v_add_co_ci_u32_e32 v1, vcc_lo, s6, v8, vcc_lo
	global_load_dword v22, v[7:8], off
	;; [unrolled: 3-line block ×4, first 2 shown]
	v_add_co_u32 v7, vcc_lo, v0, s9
	v_add_co_ci_u32_e32 v8, vcc_lo, s1, v1, vcc_lo
	global_load_dword v53, v[2:3], off offset:1448
	v_add_co_u32 v9, vcc_lo, v7, s0
	v_add_co_ci_u32_e32 v10, vcc_lo, s6, v8, vcc_lo
	global_load_dword v25, v[0:1], off
	v_add_co_u32 v0, vcc_lo, v9, s9
	v_add_co_ci_u32_e32 v1, vcc_lo, s1, v10, vcc_lo
	global_load_dword v7, v[7:8], off
	s_clause 0x1
	global_load_dword v52, v[5:6], off offset:472
	global_load_dword v51, v[2:3], off offset:1952
	global_load_dword v8, v[9:10], off
	global_load_dword v9, v[0:1], off
	v_add_co_u32 v0, vcc_lo, v0, s0
	v_add_co_ci_u32_e32 v1, vcc_lo, s6, v1, vcc_lo
	v_add_co_u32 v2, vcc_lo, 0x1800, v11
	v_add_co_ci_u32_e32 v3, vcc_lo, 0, v12, vcc_lo
	global_load_dword v10, v[0:1], off
	s_clause 0x1
	global_load_dword v50, v[5:6], off offset:976
	global_load_dword v49, v[2:3], off offset:408
	v_add_co_u32 v12, s0, 0x7e, v60
	v_add_co_ci_u32_e64 v0, null, 0, 0, s0
	v_add_co_u32 v13, s0, 0xfc, v60
	v_add_co_ci_u32_e64 v0, null, 0, 0, s0
	;; [unrolled: 2-line block ×3, first 2 shown]
	v_add_nc_u32_e32 v0, 0x200, v64
	v_add_nc_u32_e32 v1, 0x1200, v64
	;; [unrolled: 1-line block ×3, first 2 shown]
	s_load_dwordx4 s[8:11], s[2:3], 0x0
	v_lshlrev_b32_e32 v42, 3, v12
	v_lshlrev_b32_e32 v41, 3, v13
	;; [unrolled: 1-line block ×3, first 2 shown]
	s_load_dwordx2 s[2:3], s[4:5], 0x38
	v_cmp_gt_u16_e32 vcc_lo, 0x54, v17
                                        ; kill: def $vgpr17 killed $sgpr0 killed $exec
	s_waitcnt vmcnt(25)
	v_lshrrev_b32_e32 v2, 16, v4
	v_mul_f16_sdwa v3, v63, v4 dst_sel:DWORD dst_unused:UNUSED_PAD src0_sel:WORD_1 src1_sel:DWORD
	s_waitcnt vmcnt(24)
	v_lshrrev_b32_e32 v11, 16, v15
	v_mul_f16_sdwa v26, v62, v15 dst_sel:DWORD dst_unused:UNUSED_PAD src0_sel:WORD_1 src1_sel:DWORD
	v_mul_f16_sdwa v5, v63, v2 dst_sel:DWORD dst_unused:UNUSED_PAD src0_sel:WORD_1 src1_sel:DWORD
	v_fma_f16 v2, v63, v2, -v3
	v_mul_f16_sdwa v3, v62, v11 dst_sel:DWORD dst_unused:UNUSED_PAD src0_sel:WORD_1 src1_sel:DWORD
	v_fma_f16 v11, v62, v11, -v26
	v_fmac_f16_e32 v5, v63, v4
	s_waitcnt vmcnt(18)
	v_lshrrev_b32_e32 v4, 16, v18
	v_mul_f16_sdwa v26, v61, v18 dst_sel:DWORD dst_unused:UNUSED_PAD src0_sel:WORD_1 src1_sel:DWORD
	v_fmac_f16_e32 v3, v62, v15
	s_waitcnt vmcnt(17)
	v_lshrrev_b32_e32 v15, 16, v19
	v_pack_b32_f16 v2, v5, v2
	v_mul_f16_sdwa v5, v61, v4 dst_sel:DWORD dst_unused:UNUSED_PAD src0_sel:WORD_1 src1_sel:DWORD
	v_fma_f16 v4, v61, v4, -v26
	v_pack_b32_f16 v3, v3, v11
	v_mul_f16_sdwa v31, v59, v19 dst_sel:DWORD dst_unused:UNUSED_PAD src0_sel:WORD_1 src1_sel:DWORD
	s_waitcnt vmcnt(16)
	v_mul_f16_sdwa v26, v58, v20 dst_sel:DWORD dst_unused:UNUSED_PAD src0_sel:WORD_1 src1_sel:DWORD
	v_fmac_f16_e32 v5, v61, v18
	v_lshrrev_b32_e32 v18, 16, v20
	v_mul_f16_sdwa v11, v59, v15 dst_sel:DWORD dst_unused:UNUSED_PAD src0_sel:WORD_1 src1_sel:DWORD
	ds_write_b32 v64, v3 offset:3528
	v_fma_f16 v15, v59, v15, -v31
	v_pack_b32_f16 v3, v5, v4
	v_mul_f16_sdwa v4, v58, v18 dst_sel:DWORD dst_unused:UNUSED_PAD src0_sel:WORD_1 src1_sel:DWORD
	v_fma_f16 v5, v58, v18, -v26
	v_fmac_f16_e32 v11, v59, v19
	s_waitcnt vmcnt(13)
	v_lshrrev_b32_e32 v18, 16, v21
	v_mul_f16_sdwa v19, v57, v21 dst_sel:DWORD dst_unused:UNUSED_PAD src0_sel:WORD_1 src1_sel:DWORD
	ds_write2_b32 v64, v2, v3 offset1:126
	v_fmac_f16_e32 v4, v58, v20
	v_pack_b32_f16 v2, v11, v15
	v_mul_f16_sdwa v3, v57, v18 dst_sel:DWORD dst_unused:UNUSED_PAD src0_sel:WORD_1 src1_sel:DWORD
	s_waitcnt vmcnt(12)
	v_lshrrev_b32_e32 v11, 16, v22
	v_fma_f16 v15, v57, v18, -v19
	v_mul_f16_sdwa v18, v56, v22 dst_sel:DWORD dst_unused:UNUSED_PAD src0_sel:WORD_1 src1_sel:DWORD
	v_pack_b32_f16 v4, v4, v5
	v_fmac_f16_e32 v3, v57, v21
	s_waitcnt vmcnt(11)
	v_lshrrev_b32_e32 v19, 16, v23
	v_mul_f16_sdwa v20, v55, v23 dst_sel:DWORD dst_unused:UNUSED_PAD src0_sel:WORD_1 src1_sel:DWORD
	v_mul_f16_sdwa v5, v56, v11 dst_sel:DWORD dst_unused:UNUSED_PAD src0_sel:WORD_1 src1_sel:DWORD
	v_fma_f16 v11, v56, v11, -v18
	v_pack_b32_f16 v3, v3, v15
	v_mul_f16_sdwa v15, v55, v19 dst_sel:DWORD dst_unused:UNUSED_PAD src0_sel:WORD_1 src1_sel:DWORD
	v_fma_f16 v18, v55, v19, -v20
	s_waitcnt vmcnt(10)
	v_lshrrev_b32_e32 v19, 16, v24
	v_fmac_f16_e32 v5, v56, v22
	v_mul_f16_sdwa v20, v54, v24 dst_sel:DWORD dst_unused:UNUSED_PAD src0_sel:WORD_1 src1_sel:DWORD
	ds_write2_b32 v28, v2, v3 offset0:112 offset1:238
	v_fmac_f16_e32 v15, v55, v23
	v_mul_f16_sdwa v3, v54, v19 dst_sel:DWORD dst_unused:UNUSED_PAD src0_sel:WORD_1 src1_sel:DWORD
	v_pack_b32_f16 v2, v5, v11
	v_fma_f16 v5, v54, v19, -v20
	s_waitcnt vmcnt(8)
	v_lshrrev_b32_e32 v11, 16, v25
	v_mul_f16_sdwa v19, v53, v25 dst_sel:DWORD dst_unused:UNUSED_PAD src0_sel:WORD_1 src1_sel:DWORD
	v_pack_b32_f16 v15, v15, v18
	v_fmac_f16_e32 v3, v54, v24
	s_waitcnt vmcnt(7)
	v_lshrrev_b32_e32 v18, 16, v7
	v_mul_f16_sdwa v20, v53, v11 dst_sel:DWORD dst_unused:UNUSED_PAD src0_sel:WORD_1 src1_sel:DWORD
	v_fma_f16 v11, v53, v11, -v19
	s_waitcnt vmcnt(6)
	v_mul_f16_sdwa v19, v52, v7 dst_sel:DWORD dst_unused:UNUSED_PAD src0_sel:WORD_1 src1_sel:DWORD
	v_pack_b32_f16 v3, v3, v5
	v_mul_f16_sdwa v5, v52, v18 dst_sel:DWORD dst_unused:UNUSED_PAD src0_sel:WORD_1 src1_sel:DWORD
	s_waitcnt vmcnt(4)
	v_lshrrev_b32_e32 v21, 16, v8
	v_fmac_f16_e32 v20, v53, v25
	v_fma_f16 v18, v52, v18, -v19
	v_mul_f16_sdwa v19, v51, v8 dst_sel:DWORD dst_unused:UNUSED_PAD src0_sel:WORD_1 src1_sel:DWORD
	v_fmac_f16_e32 v5, v52, v7
	s_waitcnt vmcnt(3)
	v_lshrrev_b32_e32 v7, 16, v9
	s_waitcnt vmcnt(2)
	v_lshrrev_b32_e32 v23, 16, v10
	v_mul_f16_sdwa v22, v51, v21 dst_sel:DWORD dst_unused:UNUSED_PAD src0_sel:WORD_1 src1_sel:DWORD
	v_fma_f16 v19, v51, v21, -v19
	s_waitcnt vmcnt(1)
	v_mul_f16_sdwa v21, v50, v9 dst_sel:DWORD dst_unused:UNUSED_PAD src0_sel:WORD_1 src1_sel:DWORD
	v_mul_f16_sdwa v24, v50, v7 dst_sel:DWORD dst_unused:UNUSED_PAD src0_sel:WORD_1 src1_sel:DWORD
	s_waitcnt vmcnt(0)
	v_mul_f16_sdwa v25, v49, v10 dst_sel:DWORD dst_unused:UNUSED_PAD src0_sel:WORD_1 src1_sel:DWORD
	v_mul_f16_sdwa v26, v49, v23 dst_sel:DWORD dst_unused:UNUSED_PAD src0_sel:WORD_1 src1_sel:DWORD
	v_fmac_f16_e32 v22, v51, v8
	v_fma_f16 v7, v50, v7, -v21
	v_fmac_f16_e32 v24, v50, v9
	v_fma_f16 v8, v49, v23, -v25
	v_fmac_f16_e32 v26, v49, v10
	v_pack_b32_f16 v9, v20, v11
	v_pack_b32_f16 v5, v5, v18
	;; [unrolled: 1-line block ×5, first 2 shown]
	ds_write2_b32 v0, v4, v2 offset0:124 offset1:250
	ds_write2_b32 v1, v15, v9 offset0:108 offset1:234
	;; [unrolled: 1-line block ×3, first 2 shown]
	ds_write_b32 v64, v7 offset:3024
	ds_write2_b32 v6, v10, v8 offset0:104 offset1:230
	s_waitcnt lgkmcnt(0)
	s_barrier
	buffer_gl0_inv
	ds_read2_b32 v[2:3], v64 offset1:126
	ds_read2_b32 v[4:5], v30 offset0:116 offset1:242
	ds_read2_b32 v[7:8], v28 offset0:112 offset1:238
	ds_read2_b32 v[9:10], v0 offset0:124 offset1:250
	ds_read2_b32 v[18:19], v1 offset0:108 offset1:234
	ds_read2_b32 v[20:21], v29 offset0:120 offset1:246
	ds_read2_b32 v[22:23], v6 offset0:104 offset1:230
	v_lshlrev_b32_e32 v11, 2, v27
	v_add_co_u32 v15, null, 0x1f8, v60
	v_lshlrev_b32_e32 v31, 2, v33
	s_waitcnt lgkmcnt(0)
	v_add_nc_u32_e32 v32, 0x1000, v11
	v_lshlrev_b32_e32 v39, 3, v15
	s_barrier
	buffer_gl0_inv
	v_pk_add_f16 v24, v2, v5 neg_lo:[0,1] neg_hi:[0,1]
	v_pk_add_f16 v26, v3, v7 neg_lo:[0,1] neg_hi:[0,1]
	;; [unrolled: 1-line block ×7, first 2 shown]
	v_pk_fma_f16 v23, v2, 2.0, v24 op_sel_hi:[1,0,1] neg_lo:[0,0,1] neg_hi:[0,0,1]
	v_pk_fma_f16 v25, v3, 2.0, v26 op_sel_hi:[1,0,1] neg_lo:[0,0,1] neg_hi:[0,0,1]
	;; [unrolled: 1-line block ×7, first 2 shown]
	ds_write_b64 v38, v[23:24]
	ds_write_b64 v42, v[25:26]
	ds_write_b64 v41, v[7:8]
	ds_write_b64 v40, v[10:11]
	ds_write_b64 v39, v[18:19]
	ds_write2_b64 v32, v[21:22], v[4:5] offset0:118 offset1:244
	s_waitcnt lgkmcnt(0)
	s_barrier
	buffer_gl0_inv
	global_load_dword v37, v31, s[14:15]
	v_lshlrev_b32_e32 v2, 1, v12
	v_lshlrev_b32_e32 v3, 1, v13
	;; [unrolled: 1-line block ×4, first 2 shown]
	v_and_or_b32 v5, 0xfc, v27, v33
	v_and_or_b32 v19, 0x1fc, v2, v33
	v_and_or_b32 v20, 0x3fc, v3, v33
	ds_read2_b32 v[2:3], v28 offset0:112 offset1:238
	v_and_or_b32 v28, 0x7fc, v7, v33
	ds_read2_b32 v[7:8], v6 offset0:104 offset1:230
	v_add_nc_u32_e32 v31, 0x4ec, v27
	v_add_nc_u32_e32 v32, 0x5e8, v27
	v_lshlrev_b32_e32 v43, 2, v5
	v_and_or_b32 v27, 0x3fc, v4, v33
	ds_read2_b32 v[4:5], v1 offset0:108 offset1:234
	ds_read2_b32 v[9:10], v30 offset0:116 offset1:242
	ds_read2_b32 v[21:22], v64 offset1:126
	ds_read2_b32 v[23:24], v0 offset0:124 offset1:250
	ds_read2_b32 v[25:26], v29 offset0:120 offset1:246
	v_and_or_b32 v30, 0x7fc, v32, v33
	v_and_or_b32 v34, 0x5fc, v31, v33
	v_lshlrev_b32_e32 v44, 2, v19
	v_lshlrev_b32_e32 v45, 2, v20
	;; [unrolled: 1-line block ×6, first 2 shown]
	v_add_nc_u32_e32 v11, 0x800, v64
	s_waitcnt lgkmcnt(6)
	v_lshrrev_b32_e32 v19, 16, v2
	v_lshrrev_b32_e32 v20, 16, v3
	s_waitcnt lgkmcnt(5)
	v_lshrrev_b32_e32 v30, 16, v8
	v_lshrrev_b32_e32 v29, 16, v7
	v_add_nc_u32_e32 v18, 0xc00, v64
	s_waitcnt vmcnt(0) lgkmcnt(0)
	s_barrier
	v_lshrrev_b32_e32 v33, 16, v10
	v_lshrrev_b32_e32 v27, 16, v4
	;; [unrolled: 1-line block ×10, first 2 shown]
	buffer_gl0_inv
	v_mul_f16_sdwa v78, v30, v37 dst_sel:DWORD dst_unused:UNUSED_PAD src0_sel:DWORD src1_sel:WORD_1
	v_mul_f16_sdwa v82, v10, v37 dst_sel:DWORD dst_unused:UNUSED_PAD src0_sel:DWORD src1_sel:WORD_1
	;; [unrolled: 1-line block ×14, first 2 shown]
	v_fma_f16 v8, v8, v37, -v78
	v_fmac_f16_e32 v82, v33, v37
	v_fma_f16 v10, v10, v37, -v83
	v_fma_f16 v2, v2, v37, -v70
	v_fmac_f16_e32 v71, v19, v37
	v_fma_f16 v3, v3, v37, -v72
	v_fmac_f16_e32 v73, v20, v37
	;; [unrolled: 2-line block ×5, first 2 shown]
	v_fmac_f16_e32 v81, v30, v37
	v_sub_f16_e32 v10, v21, v10
	v_sub_f16_e32 v19, v9, v8
	;; [unrolled: 1-line block ×14, first 2 shown]
	v_fma_f16 v21, v21, 2.0, -v10
	v_fma_f16 v29, v9, 2.0, -v19
	;; [unrolled: 1-line block ×4, first 2 shown]
	v_pack_b32_f16 v8, v10, v8
	v_fma_f16 v10, v35, 2.0, -v27
	v_fma_f16 v23, v23, 2.0, -v3
	v_pack_b32_f16 v2, v2, v27
	v_fma_f16 v27, v36, 2.0, -v28
	v_fma_f16 v24, v24, 2.0, -v4
	;; [unrolled: 3-line block ×3, first 2 shown]
	v_fma_f16 v34, v67, 2.0, -v33
	v_fma_f16 v26, v26, 2.0, -v7
	v_pack_b32_f16 v4, v4, v30
	v_pack_b32_f16 v5, v5, v33
	v_fma_f16 v33, v68, 2.0, -v70
	v_fma_f16 v30, v69, 2.0, -v20
	v_pack_b32_f16 v9, v21, v9
	v_pack_b32_f16 v10, v22, v10
	;; [unrolled: 1-line block ×9, first 2 shown]
	ds_write2_b32 v43, v9, v8 offset1:2
	ds_write2_b32 v44, v10, v2 offset1:2
	ds_write2_b32 v45, v21, v3 offset1:2
	ds_write2_b32 v46, v22, v4 offset1:2
	ds_write2_b32 v47, v23, v5 offset1:2
	ds_write2_b32 v48, v24, v7 offset1:2
	ds_write2_b32 v66, v25, v35 offset1:2
	s_waitcnt lgkmcnt(0)
	s_barrier
	buffer_gl0_inv
	ds_read2_b32 v[2:3], v64 offset1:126
	ds_read2_b32 v[10:11], v11 offset0:76 offset1:202
	ds_read2_b32 v[8:9], v1 offset0:24 offset1:150
	;; [unrolled: 1-line block ×5, first 2 shown]
                                        ; implicit-def: $vgpr21
                                        ; implicit-def: $vgpr22
	s_and_saveexec_b32 s0, vcc_lo
	s_cbranch_execz .LBB0_3
; %bb.2:
	ds_read_b32 v29, v64 offset:2016
	ds_read_b32 v19, v64 offset:4368
	;; [unrolled: 1-line block ×3, first 2 shown]
	s_waitcnt lgkmcnt(2)
	v_lshrrev_b32_e32 v30, 16, v29
	s_waitcnt lgkmcnt(1)
	v_lshrrev_b32_e32 v20, 16, v19
	;; [unrolled: 2-line block ×3, first 2 shown]
.LBB0_3:
	s_or_b32 exec_lo, exec_lo, s0
	v_and_b32_e32 v65, 3, v60
	v_and_b32_e32 v23, 3, v14
	;; [unrolled: 1-line block ×3, first 2 shown]
	v_lshrrev_b32_e32 v71, 2, v60
	v_lshrrev_b32_e32 v72, 2, v12
	v_lshlrev_b32_e32 v17, 3, v65
	v_lshlrev_b32_e32 v24, 3, v23
	v_lshrrev_b32_e32 v75, 2, v14
	v_lshrrev_b32_e32 v73, 2, v13
	v_mul_u32_u24_e32 v71, 12, v71
	s_clause 0x4
	global_load_dwordx2 v[17:18], v17, s[14:15] offset:8
	global_load_dword v68, v24, s[14:15] offset:8
	global_load_dword v70, v24, s[14:15] offset:10
	;; [unrolled: 1-line block ×3, first 2 shown]
	global_load_ushort v74, v24, s[14:15] offset:14
	v_lshlrev_b32_e32 v24, 3, v25
	v_mul_u32_u24_e32 v72, 12, v72
	v_mul_u32_u24_e32 v75, 12, v75
	s_waitcnt lgkmcnt(4)
	v_lshrrev_b32_e32 v26, 16, v10
	s_waitcnt lgkmcnt(3)
	v_lshrrev_b32_e32 v27, 16, v8
	global_load_ushort v76, v24, s[14:15] offset:8
	v_mul_u32_u24_e32 v73, 12, v73
	v_or_b32_e32 v71, v71, v65
	v_or_b32_e32 v25, v72, v25
	;; [unrolled: 1-line block ×3, first 2 shown]
	v_lshrrev_b32_e32 v33, 16, v11
	v_lshrrev_b32_e32 v34, 16, v9
	s_waitcnt lgkmcnt(1)
	v_lshrrev_b32_e32 v36, 16, v4
	s_waitcnt lgkmcnt(0)
	v_lshrrev_b32_e32 v77, 16, v6
	v_lshrrev_b32_e32 v80, 16, v5
	;; [unrolled: 1-line block ×3, first 2 shown]
	v_or_b32_e32 v72, v73, v65
	v_lshlrev_b32_e32 v75, 2, v71
	v_lshlrev_b32_e32 v73, 2, v25
	v_lshlrev_b32_e32 v71, 2, v23
	v_lshrrev_b32_e32 v24, 16, v2
	v_lshrrev_b32_e32 v28, 16, v3
	;; [unrolled: 1-line block ×5, first 2 shown]
	v_lshlrev_b32_e32 v72, 2, v72
	s_waitcnt vmcnt(0)
	s_barrier
	buffer_gl0_inv
	v_mul_f16_sdwa v23, v26, v17 dst_sel:DWORD dst_unused:UNUSED_PAD src0_sel:DWORD src1_sel:WORD_1
	v_mul_f16_sdwa v25, v10, v17 dst_sel:DWORD dst_unused:UNUSED_PAD src0_sel:DWORD src1_sel:WORD_1
	;; [unrolled: 1-line block ×6, first 2 shown]
	v_lshrrev_b32_e32 v78, 16, v70
	v_mul_f16_sdwa v86, v34, v69 dst_sel:DWORD dst_unused:UNUSED_PAD src0_sel:DWORD src1_sel:WORD_1
	v_mul_f16_sdwa v87, v9, v69 dst_sel:DWORD dst_unused:UNUSED_PAD src0_sel:DWORD src1_sel:WORD_1
	;; [unrolled: 1-line block ×6, first 2 shown]
	v_mul_f16_e32 v92, v80, v70
	v_mul_f16_e32 v93, v5, v70
	;; [unrolled: 1-line block ×4, first 2 shown]
	v_mul_f16_sdwa v96, v20, v17 dst_sel:DWORD dst_unused:UNUSED_PAD src0_sel:DWORD src1_sel:WORD_1
	v_mul_f16_sdwa v97, v19, v17 dst_sel:DWORD dst_unused:UNUSED_PAD src0_sel:DWORD src1_sel:WORD_1
	v_mul_f16_sdwa v98, v22, v18 dst_sel:DWORD dst_unused:UNUSED_PAD src0_sel:DWORD src1_sel:WORD_1
	v_mul_f16_sdwa v99, v21, v18 dst_sel:DWORD dst_unused:UNUSED_PAD src0_sel:DWORD src1_sel:WORD_1
	v_fma_f16 v10, v10, v17, -v23
	v_fma_f16 v8, v8, v18, -v82
	v_fmac_f16_e32 v25, v26, v17
	v_fmac_f16_e32 v83, v27, v18
	v_fma_f16 v11, v11, v76, -v84
	v_fma_f16 v9, v9, v78, -v86
	v_fmac_f16_e32 v85, v33, v76
	v_fmac_f16_e32 v87, v34, v78
	;; [unrolled: 1-line block ×3, first 2 shown]
	v_fma_f16 v4, v4, v17, -v88
	v_fma_f16 v6, v6, v18, -v90
	v_fmac_f16_e32 v91, v77, v18
	v_fma_f16 v5, v5, v68, -v92
	v_fmac_f16_e32 v93, v80, v68
	;; [unrolled: 2-line block ×5, first 2 shown]
	v_add_f16_e32 v22, v10, v8
	v_sub_f16_e32 v23, v25, v83
	v_add_f16_e32 v26, v24, v25
	v_add_f16_e32 v25, v25, v83
	v_add_f16_e32 v33, v11, v9
	v_add_f16_e32 v77, v85, v87
	v_sub_f16_e32 v36, v85, v87
	v_add_f16_e32 v34, v28, v85
	v_add_f16_e32 v81, v4, v6
	;; [unrolled: 1-line block ×4, first 2 shown]
	v_sub_f16_e32 v10, v10, v8
	v_add_f16_e32 v27, v3, v11
	v_sub_f16_e32 v82, v89, v91
	v_add_f16_e32 v84, v35, v89
	v_add_f16_e32 v88, v5, v7
	v_sub_f16_e32 v89, v93, v95
	v_add_f16_e32 v90, v79, v93
	v_add_f16_e32 v92, v93, v95
	;; [unrolled: 1-line block ×4, first 2 shown]
	v_sub_f16_e32 v96, v97, v99
	v_add_f16_e32 v98, v30, v97
	v_add_f16_e32 v97, v97, v99
	v_fmac_f16_e32 v24, -0.5, v25
	v_fma_f16 v2, -0.5, v22, v2
	v_sub_f16_e32 v11, v11, v9
	v_fmac_f16_e32 v3, -0.5, v33
	v_fmac_f16_e32 v28, -0.5, v77
	v_add_f16_e32 v80, v0, v4
	v_sub_f16_e32 v4, v4, v6
	v_fma_f16 v0, -0.5, v81, v0
	v_fmac_f16_e32 v35, -0.5, v85
	v_add_f16_e32 v86, v1, v5
	v_sub_f16_e32 v5, v5, v7
	v_sub_f16_e32 v19, v19, v20
	v_add_f16_e32 v8, v21, v8
	v_add_f16_e32 v21, v26, v83
	;; [unrolled: 1-line block ×4, first 2 shown]
	v_fmac_f16_e32 v1, -0.5, v88
	v_fmac_f16_e32 v79, -0.5, v92
	v_add_f16_e32 v33, v93, v20
	v_fmac_f16_e32 v29, -0.5, v94
	v_fmac_f16_e32 v30, -0.5, v97
	v_fmamk_f16 v20, v23, 0x3aee, v2
	v_fmac_f16_e32 v2, 0xbaee, v23
	v_fmamk_f16 v23, v10, 0xbaee, v24
	v_fmac_f16_e32 v24, 0x3aee, v10
	v_fmamk_f16 v10, v36, 0x3aee, v3
	v_fmamk_f16 v27, v11, 0xbaee, v28
	v_fmac_f16_e32 v3, 0xbaee, v36
	v_fmac_f16_e32 v28, 0x3aee, v11
	v_add_f16_e32 v6, v80, v6
	v_add_f16_e32 v26, v84, v91
	v_fmamk_f16 v11, v82, 0x3aee, v0
	v_fmamk_f16 v36, v4, 0xbaee, v35
	v_add_f16_e32 v7, v86, v7
	v_add_f16_e32 v22, v90, v95
	;; [unrolled: 1-line block ×3, first 2 shown]
	v_fmac_f16_e32 v0, 0xbaee, v82
	v_fmac_f16_e32 v35, 0x3aee, v4
	v_fmamk_f16 v4, v89, 0x3aee, v1
	v_fmac_f16_e32 v1, 0xbaee, v89
	v_fmamk_f16 v77, v5, 0xbaee, v79
	;; [unrolled: 2-line block ×4, first 2 shown]
	v_fmac_f16_e32 v30, 0x3aee, v19
	v_pack_b32_f16 v5, v8, v21
	v_pack_b32_f16 v8, v9, v25
	;; [unrolled: 1-line block ×12, first 2 shown]
	ds_write2_b32 v75, v5, v9 offset1:4
	ds_write_b32 v75, v2 offset:32
	ds_write2_b32 v73, v8, v10 offset1:4
	ds_write_b32 v73, v3 offset:32
	;; [unrolled: 2-line block ×4, first 2 shown]
	s_and_saveexec_b32 s0, vcc_lo
	s_cbranch_execz .LBB0_5
; %bb.4:
	v_mul_u32_u24_e32 v0, 12, v67
	v_perm_b32 v1, v34, v33, 0x5040100
	v_perm_b32 v2, v84, v83, 0x5040100
	v_perm_b32 v3, v30, v29, 0x5040100
	v_or_b32_e32 v0, v0, v65
	v_lshlrev_b32_e32 v0, 2, v0
	ds_write2_b32 v0, v1, v2 offset1:4
	ds_write_b32 v0, v3 offset:32
.LBB0_5:
	s_or_b32 exec_lo, exec_lo, s0
	v_add_nc_u32_e32 v2, 0x800, v64
	v_add_nc_u32_e32 v3, 0x1200, v64
	;; [unrolled: 1-line block ×5, first 2 shown]
	s_waitcnt lgkmcnt(0)
	s_barrier
	buffer_gl0_inv
	ds_read2_b32 v[0:1], v64 offset1:126
	ds_read2_b32 v[10:11], v2 offset0:76 offset1:202
	ds_read2_b32 v[8:9], v3 offset0:24 offset1:150
	;; [unrolled: 1-line block ×5, first 2 shown]
	s_and_saveexec_b32 s0, vcc_lo
	s_cbranch_execz .LBB0_7
; %bb.6:
	ds_read_b32 v33, v64 offset:2016
	ds_read_b32 v83, v64 offset:4368
	;; [unrolled: 1-line block ×3, first 2 shown]
	s_waitcnt lgkmcnt(2)
	v_lshrrev_b32_e32 v34, 16, v33
	s_waitcnt lgkmcnt(1)
	v_lshrrev_b32_e32 v84, 16, v83
	;; [unrolled: 2-line block ×3, first 2 shown]
.LBB0_7:
	s_or_b32 exec_lo, exec_lo, s0
	v_and_b32_e32 v36, 0xff, v60
	v_and_b32_e32 v35, 0xff, v12
	v_mov_b32_e32 v20, 0xaaab
	v_mov_b32_e32 v97, 36
	v_lshlrev_b32_e32 v88, 2, v31
	v_mul_lo_u16 v19, 0xab, v36
	v_mul_lo_u16 v21, 0xab, v35
	v_mul_u32_u24_sdwa v22, v14, v20 dst_sel:DWORD dst_unused:UNUSED_PAD src0_sel:WORD_0 src1_sel:DWORD
	v_lshlrev_b32_e32 v87, 2, v32
	s_waitcnt lgkmcnt(4)
	v_lshrrev_b32_e32 v31, 16, v10
	v_lshrrev_b16 v77, 11, v19
	v_mul_u32_u24_sdwa v19, v13, v20 dst_sel:DWORD dst_unused:UNUSED_PAD src0_sel:WORD_0 src1_sel:DWORD
	v_lshrrev_b16 v79, 11, v21
	v_mul_u32_u24_sdwa v20, v15, v20 dst_sel:DWORD dst_unused:UNUSED_PAD src0_sel:WORD_0 src1_sel:DWORD
	v_lshrrev_b32_e32 v81, 19, v22
	v_mul_lo_u16 v21, v77, 12
	v_lshrrev_b32_e32 v80, 19, v19
	v_mul_lo_u16 v19, v79, 12
	;; [unrolled: 2-line block ×3, first 2 shown]
	v_sub_nc_u16 v21, v60, v21
	v_mul_lo_u16 v20, v80, 12
	v_sub_nc_u16 v19, v12, v19
	s_waitcnt lgkmcnt(3)
	v_lshrrev_b32_e32 v32, 16, v8
	v_sub_nc_u16 v89, v14, v22
	v_and_b32_e32 v85, 0xff, v21
	v_mul_lo_u16 v21, v82, 12
	v_sub_nc_u16 v86, v13, v20
	v_and_b32_e32 v90, 0xff, v19
	v_lshlrev_b16 v19, 3, v89
	v_lshlrev_b32_e32 v13, 3, v85
	v_sub_nc_u16 v15, v15, v21
	v_lshlrev_b16 v14, 3, v86
	v_lshlrev_b32_e32 v20, 3, v90
	v_and_b32_e32 v19, 0xffff, v19
	global_load_dwordx2 v[27:28], v13, s[14:15] offset:40
	v_lshrrev_b32_e32 v92, 16, v11
	v_and_b32_e32 v14, 0xffff, v14
	global_load_dwordx2 v[25:26], v20, s[14:15] offset:40
	v_lshlrev_b16 v13, 3, v15
	v_lshrrev_b32_e32 v93, 16, v9
	v_mul_u32_u24_sdwa v101, v77, v97 dst_sel:DWORD dst_unused:UNUSED_PAD src0_sel:WORD_0 src1_sel:DWORD
	v_mul_u32_u24_sdwa v79, v79, v97 dst_sel:DWORD dst_unused:UNUSED_PAD src0_sel:WORD_0 src1_sel:DWORD
	v_mad_u16 v80, v80, 36, v86
	v_and_b32_e32 v21, 0xffff, v13
	v_add_co_u32 v13, s0, s14, v14
	v_add_co_ci_u32_e64 v14, null, s15, 0, s0
	v_add_co_u32 v19, s0, s14, v19
	v_add_co_ci_u32_e64 v20, null, s15, 0, s0
	global_load_dwordx2 v[23:24], v[13:14], off offset:40
	v_add_co_u32 v13, s0, s14, v21
	v_add_co_ci_u32_e64 v14, null, s15, 0, s0
	s_clause 0x1
	global_load_dwordx2 v[21:22], v[19:20], off offset:40
	global_load_dwordx2 v[19:20], v[13:14], off offset:40
	v_mov_b32_e32 v13, 2
	v_mad_u16 v86, v81, 36, v89
	s_waitcnt lgkmcnt(1)
	v_lshrrev_b32_e32 v95, 16, v6
	s_waitcnt lgkmcnt(0)
	v_lshrrev_b32_e32 v96, 16, v4
	v_lshrrev_b32_e32 v99, 16, v7
	;; [unrolled: 1-line block ×3, first 2 shown]
	v_mad_u16 v77, v82, 36, v15
	v_add_lshl_u32 v82, v101, v85, 2
	v_add_lshl_u32 v81, v79, v90, 2
	v_lshlrev_b32_sdwa v79, v13, v86 dst_sel:DWORD dst_unused:UNUSED_PAD src0_sel:DWORD src1_sel:WORD_0
	v_lshrrev_b32_e32 v14, 16, v0
	v_lshrrev_b32_e32 v91, 16, v1
	;; [unrolled: 1-line block ×4, first 2 shown]
	v_lshlrev_b32_sdwa v80, v13, v80 dst_sel:DWORD dst_unused:UNUSED_PAD src0_sel:DWORD src1_sel:WORD_0
	s_waitcnt vmcnt(0)
	s_barrier
	buffer_gl0_inv
	v_mul_f16_sdwa v15, v31, v27 dst_sel:DWORD dst_unused:UNUSED_PAD src0_sel:DWORD src1_sel:WORD_1
	v_mul_f16_sdwa v85, v10, v27 dst_sel:DWORD dst_unused:UNUSED_PAD src0_sel:DWORD src1_sel:WORD_1
	;; [unrolled: 1-line block ×8, first 2 shown]
	v_fma_f16 v10, v10, v27, -v15
	v_fmac_f16_e32 v85, v31, v27
	v_fma_f16 v15, v8, v28, -v86
	v_fmac_f16_e32 v89, v32, v28
	;; [unrolled: 2-line block ×4, first 2 shown]
	v_mul_f16_sdwa v32, v95, v23 dst_sel:DWORD dst_unused:UNUSED_PAD src0_sel:DWORD src1_sel:WORD_1
	v_mul_f16_sdwa v86, v6, v23 dst_sel:DWORD dst_unused:UNUSED_PAD src0_sel:DWORD src1_sel:WORD_1
	;; [unrolled: 1-line block ×4, first 2 shown]
	v_fma_f16 v6, v6, v23, -v32
	v_mul_f16_sdwa v93, v99, v21 dst_sel:DWORD dst_unused:UNUSED_PAD src0_sel:DWORD src1_sel:WORD_1
	v_mul_f16_sdwa v101, v7, v21 dst_sel:DWORD dst_unused:UNUSED_PAD src0_sel:DWORD src1_sel:WORD_1
	;; [unrolled: 1-line block ×8, first 2 shown]
	v_fmac_f16_e32 v86, v95, v23
	v_fma_f16 v32, v4, v24, -v90
	v_fmac_f16_e32 v92, v96, v24
	v_fma_f16 v7, v7, v21, -v93
	v_fmac_f16_e32 v101, v99, v21
	v_fma_f16 v90, v5, v22, -v103
	v_fma_f16 v5, v83, v19, -v105
	v_fmac_f16_e32 v9, v84, v19
	v_fma_f16 v4, v29, v20, -v106
	v_fmac_f16_e32 v8, v30, v20
	v_add_f16_e32 v29, v0, v10
	v_add_f16_e32 v30, v10, v15
	v_sub_f16_e32 v83, v85, v89
	v_add_f16_e32 v84, v14, v85
	v_add_f16_e32 v85, v85, v89
	;; [unrolled: 1-line block ×4, first 2 shown]
	v_sub_f16_e32 v96, v97, v102
	v_add_f16_e32 v99, v91, v97
	v_add_f16_e32 v97, v97, v102
	v_fmac_f16_e32 v104, v100, v22
	v_sub_f16_e32 v10, v10, v15
	v_sub_f16_e32 v11, v11, v31
	v_add_f16_e32 v15, v29, v15
	v_fma_f16 v29, -0.5, v30, v0
	v_add_f16_e32 v30, v84, v89
	v_fmac_f16_e32 v14, -0.5, v85
	v_add_f16_e32 v31, v93, v31
	v_fmac_f16_e32 v1, -0.5, v95
	v_fmac_f16_e32 v91, -0.5, v97
	v_add_f16_e32 v85, v2, v6
	v_add_f16_e32 v89, v6, v32
	v_sub_f16_e32 v93, v86, v92
	v_add_f16_e32 v95, v94, v86
	v_add_f16_e32 v86, v86, v92
	;; [unrolled: 1-line block ×4, first 2 shown]
	v_sub_f16_e32 v102, v101, v104
	v_add_f16_e32 v103, v98, v101
	v_add_f16_e32 v101, v101, v104
	;; [unrolled: 1-line block ×3, first 2 shown]
	v_sub_f16_e32 v105, v7, v90
	v_add_f16_e32 v7, v5, v4
	v_add_f16_e32 v106, v9, v8
	v_sub_f16_e32 v97, v6, v32
	v_fmamk_f16 v107, v83, 0x3aee, v29
	v_fmac_f16_e32 v29, 0xbaee, v83
	v_fmamk_f16 v83, v10, 0xbaee, v14
	v_fmac_f16_e32 v14, 0x3aee, v10
	;; [unrolled: 2-line block ×4, first 2 shown]
	v_add_f16_e32 v11, v85, v32
	v_fma_f16 v32, -0.5, v89, v2
	v_fmac_f16_e32 v94, -0.5, v86
	v_fmac_f16_e32 v3, -0.5, v100
	v_fmac_f16_e32 v98, -0.5, v101
	v_sub_f16_e32 v0, v9, v8
	v_sub_f16_e32 v6, v5, v4
	v_fma_f16 v2, -0.5, v7, v33
	v_fma_f16 v7, -0.5, v106, v34
	v_add_f16_e32 v89, v95, v92
	v_pack_b32_f16 v15, v15, v30
	v_pack_b32_f16 v30, v31, v84
	v_fmamk_f16 v31, v93, 0x3aee, v32
	v_fmamk_f16 v84, v97, 0xbaee, v94
	v_pack_b32_f16 v83, v107, v83
	v_fmac_f16_e32 v32, 0xbaee, v93
	v_fmac_f16_e32 v94, 0x3aee, v97
	v_pack_b32_f16 v14, v29, v14
	v_add_f16_e32 v90, v99, v90
	v_add_f16_e32 v92, v103, v104
	v_fmamk_f16 v93, v102, 0x3aee, v3
	v_fmamk_f16 v95, v105, 0xbaee, v98
	v_pack_b32_f16 v10, v10, v96
	v_fmac_f16_e32 v3, 0xbaee, v102
	v_fmac_f16_e32 v98, 0x3aee, v105
	v_fmamk_f16 v85, v0, 0xbaee, v2
	v_fmamk_f16 v86, v6, 0x3aee, v7
	v_pack_b32_f16 v1, v1, v91
	v_pack_b32_f16 v11, v11, v89
	ds_write2_b32 v82, v15, v83 offset1:12
	ds_write_b32 v82, v14 offset:96
	ds_write2_b32 v81, v30, v10 offset1:12
	v_pack_b32_f16 v10, v31, v84
	v_pack_b32_f16 v14, v32, v94
	;; [unrolled: 1-line block ×5, first 2 shown]
	ds_write_b32 v81, v1 offset:96
	ds_write2_b32 v80, v11, v10 offset1:12
	ds_write_b32 v80, v14 offset:96
	ds_write2_b32 v79, v29, v15 offset1:12
	ds_write_b32 v79, v3 offset:96
	s_and_saveexec_b32 s0, vcc_lo
	s_cbranch_execz .LBB0_9
; %bb.8:
	v_mul_f16_e32 v1, 0x3aee, v6
	v_add_f16_e32 v3, v34, v9
	v_add_f16_e32 v5, v33, v5
	v_mul_f16_e32 v0, 0x3aee, v0
	v_sub_f16_e32 v1, v7, v1
	v_add_f16_e32 v3, v3, v8
	v_add_f16_e32 v4, v5, v4
	;; [unrolled: 1-line block ×3, first 2 shown]
	v_lshlrev_b32_sdwa v2, v13, v77 dst_sel:DWORD dst_unused:UNUSED_PAD src0_sel:DWORD src1_sel:WORD_0
	v_pack_b32_f16 v3, v4, v3
	v_pack_b32_f16 v0, v0, v1
	v_perm_b32 v1, v86, v85, 0x5040100
	ds_write2_b32 v2, v3, v0 offset1:12
	ds_write_b32 v2, v1 offset:96
.LBB0_9:
	s_or_b32 exec_lo, exec_lo, s0
	v_mul_lo_u16 v0, v36, 57
	v_mul_lo_u16 v1, v35, 57
	s_waitcnt lgkmcnt(0)
	s_barrier
	buffer_gl0_inv
	v_lshrrev_b16 v83, 11, v0
	v_lshrrev_b16 v84, 11, v1
	v_add_nc_u32_e32 v89, 0x200, v64
	v_add_nc_u32_e32 v92, 0x600, v64
	;; [unrolled: 1-line block ×3, first 2 shown]
	v_mul_lo_u16 v0, v83, 36
	v_mul_lo_u16 v2, v84, 36
	v_add_nc_u32_e32 v93, 0xe00, v64
	v_add_nc_u32_e32 v91, 0x1200, v64
	;; [unrolled: 1-line block ×3, first 2 shown]
	v_sub_nc_u16 v0, v60, v0
	v_sub_nc_u16 v2, v12, v2
	v_bfrev_b32_e32 v101, 0.5
	v_mad_u64_u32 v[97:98], null, v60, 24, s[14:15]
	v_and_b32_e32 v99, 0xff, v0
	v_and_b32_e32 v100, 0xff, v2
	v_mul_u32_u24_sdwa v83, v83, v101 dst_sel:DWORD dst_unused:UNUSED_PAD src0_sel:WORD_0 src1_sel:DWORD
	v_mul_u32_u24_sdwa v101, v84, v101 dst_sel:DWORD dst_unused:UNUSED_PAD src0_sel:WORD_0 src1_sel:DWORD
	v_mad_u64_u32 v[0:1], null, v99, 24, s[14:15]
	v_mad_u64_u32 v[8:9], null, v100, 24, s[14:15]
	v_add_lshl_u32 v84, v83, v99, 2
	v_add_lshl_u32 v83, v101, v100, 2
	s_clause 0x3
	global_load_dwordx4 v[4:7], v[0:1], off offset:136
	global_load_dwordx2 v[31:32], v[0:1], off offset:152
	global_load_dwordx4 v[0:3], v[8:9], off offset:136
	global_load_dwordx2 v[29:30], v[8:9], off offset:152
	ds_read2_b32 v[8:9], v89 offset0:124 offset1:250
	ds_read2_b32 v[10:11], v92 offset0:120 offset1:246
	;; [unrolled: 1-line block ×6, first 2 shown]
	ds_read2_b32 v[95:96], v64 offset1:126
	s_waitcnt vmcnt(0) lgkmcnt(0)
	s_barrier
	buffer_gl0_inv
	v_lshrrev_b32_e32 v102, 16, v8
	v_lshrrev_b32_e32 v103, 16, v10
	;; [unrolled: 1-line block ×12, first 2 shown]
	v_mul_f16_sdwa v119, v106, v31 dst_sel:DWORD dst_unused:UNUSED_PAD src0_sel:DWORD src1_sel:WORD_1
	v_mul_f16_sdwa v99, v102, v4 dst_sel:DWORD dst_unused:UNUSED_PAD src0_sel:DWORD src1_sel:WORD_1
	;; [unrolled: 1-line block ×24, first 2 shown]
	v_fma_f16 v8, v8, v4, -v99
	v_fmac_f16_e32 v100, v102, v4
	v_fma_f16 v10, v10, v5, -v101
	v_fmac_f16_e32 v114, v103, v5
	;; [unrolled: 2-line block ×12, first 2 shown]
	v_add_f16_e32 v99, v8, v35
	v_add_f16_e32 v101, v100, v122
	v_sub_f16_e32 v8, v8, v35
	v_sub_f16_e32 v35, v100, v122
	v_add_f16_e32 v100, v10, v33
	v_add_f16_e32 v102, v114, v120
	v_sub_f16_e32 v10, v10, v33
	v_sub_f16_e32 v33, v114, v120
	;; [unrolled: 4-line block ×3, first 2 shown]
	v_add_f16_e32 v105, v9, v36
	v_add_f16_e32 v106, v124, v134
	;; [unrolled: 1-line block ×4, first 2 shown]
	v_sub_f16_e32 v9, v9, v36
	v_sub_f16_e32 v36, v124, v134
	;; [unrolled: 1-line block ×4, first 2 shown]
	v_add_f16_e32 v109, v13, v15
	v_sub_f16_e32 v13, v15, v13
	v_sub_f16_e32 v15, v130, v128
	v_add_f16_e32 v111, v100, v99
	v_add_f16_e32 v112, v102, v101
	v_add_f16_e32 v110, v128, v130
	v_sub_f16_e32 v113, v100, v99
	v_sub_f16_e32 v114, v102, v101
	;; [unrolled: 1-line block ×6, first 2 shown]
	v_add_f16_e32 v115, v12, v10
	v_add_f16_e32 v116, v14, v33
	v_sub_f16_e32 v117, v12, v10
	v_sub_f16_e32 v118, v14, v33
	v_sub_f16_e32 v10, v10, v8
	v_sub_f16_e32 v33, v33, v35
	v_add_f16_e32 v119, v107, v105
	v_add_f16_e32 v120, v108, v106
	v_sub_f16_e32 v121, v107, v105
	v_sub_f16_e32 v107, v109, v107
	v_add_f16_e32 v123, v13, v11
	v_add_f16_e32 v124, v15, v34
	v_sub_f16_e32 v125, v13, v11
	v_sub_f16_e32 v126, v15, v34
	;; [unrolled: 1-line block ×4, first 2 shown]
	v_add_f16_e32 v103, v103, v111
	v_add_f16_e32 v104, v104, v112
	v_sub_f16_e32 v12, v8, v12
	v_sub_f16_e32 v14, v35, v14
	;; [unrolled: 1-line block ×6, first 2 shown]
	v_add_f16_e32 v8, v115, v8
	v_add_f16_e32 v35, v116, v35
	v_mul_f16_e32 v99, 0x3a52, v99
	v_mul_f16_e32 v101, 0x3a52, v101
	;; [unrolled: 1-line block ×8, first 2 shown]
	v_add_f16_e32 v109, v109, v119
	v_add_f16_e32 v110, v110, v120
	v_sub_f16_e32 v13, v9, v13
	v_sub_f16_e32 v15, v36, v15
	v_add_f16_e32 v9, v123, v9
	v_add_f16_e32 v36, v124, v36
	v_mul_f16_e32 v119, 0x2b26, v107
	v_mul_f16_e32 v123, 0xb846, v125
	;; [unrolled: 1-line block ×5, first 2 shown]
	v_add_f16_e32 v127, v95, v103
	v_add_f16_sdwa v95, v95, v104 dst_sel:DWORD dst_unused:UNUSED_PAD src0_sel:WORD_1 src1_sel:DWORD
	v_mul_f16_e32 v105, 0x3a52, v105
	v_mul_f16_e32 v106, 0x3a52, v106
	v_fmamk_f16 v100, v100, 0x2b26, v99
	v_fmamk_f16 v102, v102, 0x2b26, v101
	v_fma_f16 v111, v113, 0x39e0, -v111
	v_fma_f16 v112, v114, 0x39e0, -v112
	;; [unrolled: 1-line block ×4, first 2 shown]
	v_fmamk_f16 v113, v12, 0x3574, v115
	v_fmamk_f16 v114, v14, 0x3574, v116
	v_fma_f16 v10, v10, 0x3b00, -v115
	v_fma_f16 v33, v33, 0x3b00, -v116
	;; [unrolled: 1-line block ×4, first 2 shown]
	v_add_f16_e32 v115, v96, v109
	v_add_f16_sdwa v96, v96, v110 dst_sel:DWORD dst_unused:UNUSED_PAD src0_sel:WORD_1 src1_sel:DWORD
	v_mul_f16_e32 v120, 0x2b26, v108
	v_fma_f16 v116, v121, 0x39e0, -v119
	v_fmamk_f16 v118, v13, 0x3574, v123
	v_fmamk_f16 v119, v15, 0x3574, v124
	v_fma_f16 v11, v11, 0x3b00, -v123
	v_fma_f16 v34, v34, 0x3b00, -v124
	;; [unrolled: 1-line block ×4, first 2 shown]
	v_fmamk_f16 v103, v103, 0xbcab, v127
	v_fmamk_f16 v104, v104, 0xbcab, v95
	;; [unrolled: 1-line block ×4, first 2 shown]
	v_fmac_f16_e32 v113, 0x370e, v8
	v_fmac_f16_e32 v114, 0x370e, v35
	;; [unrolled: 1-line block ×6, first 2 shown]
	v_fmamk_f16 v8, v109, 0xbcab, v115
	v_fmamk_f16 v35, v110, 0xbcab, v96
	v_fma_f16 v117, v122, 0x39e0, -v120
	v_fma_f16 v105, v121, 0xb9e0, -v105
	;; [unrolled: 1-line block ×3, first 2 shown]
	v_fmac_f16_e32 v118, 0x370e, v9
	v_fmac_f16_e32 v119, 0x370e, v36
	;; [unrolled: 1-line block ×6, first 2 shown]
	v_pack_b32_f16 v9, v127, v95
	v_pack_b32_f16 v36, v115, v96
	v_add_f16_e32 v95, v100, v103
	v_add_f16_e32 v96, v102, v104
	;; [unrolled: 1-line block ×13, first 2 shown]
	v_sub_f16_e32 v106, v96, v113
	v_add_f16_e32 v109, v14, v99
	v_sub_f16_e32 v110, v101, v12
	v_sub_f16_e32 v111, v100, v33
	v_add_f16_e32 v112, v10, v102
	v_add_f16_e32 v33, v33, v100
	v_sub_f16_e32 v10, v102, v10
	v_sub_f16_e32 v14, v99, v14
	v_add_f16_e32 v12, v12, v101
	v_sub_f16_e32 v95, v95, v114
	v_add_f16_e32 v96, v113, v96
	v_add_f16_e32 v99, v119, v103
	v_sub_f16_e32 v100, v104, v118
	v_add_f16_e32 v101, v15, v8
	v_sub_f16_e32 v102, v35, v13
	v_sub_f16_e32 v113, v107, v34
	v_add_f16_e32 v114, v11, v108
	v_add_f16_e32 v34, v34, v107
	v_sub_f16_e32 v11, v108, v11
	v_sub_f16_e32 v8, v8, v15
	v_add_f16_e32 v13, v13, v35
	v_sub_f16_e32 v15, v103, v119
	v_add_f16_e32 v35, v118, v104
	v_pack_b32_f16 v103, v105, v106
	v_pack_b32_f16 v104, v109, v110
	;; [unrolled: 1-line block ×12, first 2 shown]
	ds_write2_b32 v84, v9, v103 offset1:36
	ds_write2_b32 v84, v104, v105 offset0:72 offset1:108
	ds_write2_b32 v84, v10, v12 offset0:144 offset1:180
	ds_write_b32 v84, v14 offset:864
	ds_write2_b32 v83, v36, v33 offset1:36
	ds_write2_b32 v83, v95, v96 offset0:72 offset1:108
	ds_write2_b32 v83, v11, v8 offset0:144 offset1:180
	ds_write_b32 v83, v13 offset:864
	v_add_co_u32 v33, s0, 0xbd0, v97
	v_add_co_ci_u32_e64 v34, s0, 0, v98, s0
	s_waitcnt lgkmcnt(0)
	s_barrier
	buffer_gl0_inv
	s_clause 0x3
	global_load_dwordx4 v[12:15], v[97:98], off offset:1000
	global_load_dwordx2 v[35:36], v[97:98], off offset:1016
	global_load_dwordx4 v[8:11], v[33:34], off offset:1000
	global_load_dwordx2 v[33:34], v[33:34], off offset:1016
	ds_read2_b32 v[97:98], v89 offset0:124 offset1:250
	ds_read2_b32 v[99:100], v92 offset0:120 offset1:246
	;; [unrolled: 1-line block ×6, first 2 shown]
	ds_read2_b32 v[111:112], v64 offset1:126
	v_lshlrev_b32_e32 v95, 2, v60
	v_add_co_u32 v96, s0, s12, v95
	v_add_co_ci_u32_e64 v95, null, s13, 0, s0
	v_add_co_u32 v109, s0, 0x1800, v96
	v_add_co_ci_u32_e64 v110, s0, 0, v95, s0
	s_waitcnt lgkmcnt(6)
	v_lshrrev_b32_e32 v113, 16, v97
	s_waitcnt lgkmcnt(5)
	v_lshrrev_b32_e32 v114, 16, v99
	;; [unrolled: 2-line block ×5, first 2 shown]
	v_lshrrev_b32_e32 v116, 16, v103
	v_lshrrev_b32_e32 v119, 16, v98
	;; [unrolled: 1-line block ×7, first 2 shown]
	s_waitcnt vmcnt(2)
	v_mul_f16_sdwa v133, v117, v35 dst_sel:DWORD dst_unused:UNUSED_PAD src0_sel:DWORD src1_sel:WORD_1
	v_mul_f16_sdwa v125, v113, v12 dst_sel:DWORD dst_unused:UNUSED_PAD src0_sel:DWORD src1_sel:WORD_1
	v_mul_f16_sdwa v126, v97, v12 dst_sel:DWORD dst_unused:UNUSED_PAD src0_sel:DWORD src1_sel:WORD_1
	v_mul_f16_sdwa v127, v114, v13 dst_sel:DWORD dst_unused:UNUSED_PAD src0_sel:DWORD src1_sel:WORD_1
	v_mul_f16_sdwa v128, v99, v13 dst_sel:DWORD dst_unused:UNUSED_PAD src0_sel:DWORD src1_sel:WORD_1
	v_mul_f16_sdwa v134, v105, v35 dst_sel:DWORD dst_unused:UNUSED_PAD src0_sel:DWORD src1_sel:WORD_1
	v_mul_f16_sdwa v135, v118, v36 dst_sel:DWORD dst_unused:UNUSED_PAD src0_sel:DWORD src1_sel:WORD_1
	v_mul_f16_sdwa v136, v107, v36 dst_sel:DWORD dst_unused:UNUSED_PAD src0_sel:DWORD src1_sel:WORD_1
	v_mul_f16_sdwa v129, v115, v14 dst_sel:DWORD dst_unused:UNUSED_PAD src0_sel:DWORD src1_sel:WORD_1
	v_mul_f16_sdwa v130, v101, v14 dst_sel:DWORD dst_unused:UNUSED_PAD src0_sel:DWORD src1_sel:WORD_1
	v_mul_f16_sdwa v131, v116, v15 dst_sel:DWORD dst_unused:UNUSED_PAD src0_sel:DWORD src1_sel:WORD_1
	v_mul_f16_sdwa v132, v103, v15 dst_sel:DWORD dst_unused:UNUSED_PAD src0_sel:DWORD src1_sel:WORD_1
	s_waitcnt vmcnt(1)
	v_mul_f16_sdwa v137, v119, v8 dst_sel:DWORD dst_unused:UNUSED_PAD src0_sel:DWORD src1_sel:WORD_1
	v_mul_f16_sdwa v138, v98, v8 dst_sel:DWORD dst_unused:UNUSED_PAD src0_sel:DWORD src1_sel:WORD_1
	;; [unrolled: 1-line block ×4, first 2 shown]
	s_waitcnt vmcnt(0)
	v_mul_f16_sdwa v145, v123, v33 dst_sel:DWORD dst_unused:UNUSED_PAD src0_sel:DWORD src1_sel:WORD_1
	v_mul_f16_sdwa v146, v106, v33 dst_sel:DWORD dst_unused:UNUSED_PAD src0_sel:DWORD src1_sel:WORD_1
	;; [unrolled: 1-line block ×8, first 2 shown]
	v_fma_f16 v97, v97, v12, -v125
	v_fmac_f16_e32 v126, v113, v12
	v_fma_f16 v99, v99, v13, -v127
	v_fmac_f16_e32 v128, v114, v13
	;; [unrolled: 2-line block ×12, first 2 shown]
	v_add_f16_e32 v113, v97, v107
	v_add_f16_e32 v114, v126, v136
	;; [unrolled: 1-line block ×4, first 2 shown]
	v_sub_f16_e32 v97, v97, v107
	v_sub_f16_e32 v107, v126, v136
	;; [unrolled: 1-line block ×4, first 2 shown]
	v_add_f16_e32 v117, v101, v103
	v_add_f16_e32 v118, v130, v132
	v_sub_f16_e32 v101, v103, v101
	v_sub_f16_e32 v103, v132, v130
	v_add_f16_e32 v119, v98, v108
	v_add_f16_e32 v120, v138, v148
	;; [unrolled: 1-line block ×4, first 2 shown]
	v_sub_f16_e32 v98, v98, v108
	v_sub_f16_e32 v108, v138, v148
	;; [unrolled: 1-line block ×4, first 2 shown]
	v_add_f16_e32 v123, v102, v104
	v_sub_f16_e32 v102, v104, v102
	v_sub_f16_e32 v104, v144, v142
	v_add_f16_e32 v125, v115, v113
	v_add_f16_e32 v126, v116, v114
	;; [unrolled: 1-line block ×3, first 2 shown]
	v_sub_f16_e32 v127, v115, v113
	v_sub_f16_e32 v128, v116, v114
	;; [unrolled: 1-line block ×6, first 2 shown]
	v_add_f16_e32 v129, v101, v99
	v_add_f16_e32 v130, v103, v105
	v_sub_f16_e32 v131, v101, v99
	v_sub_f16_e32 v132, v103, v105
	;; [unrolled: 1-line block ×4, first 2 shown]
	v_add_f16_e32 v133, v121, v119
	v_add_f16_e32 v134, v122, v120
	v_sub_f16_e32 v135, v121, v119
	v_sub_f16_e32 v121, v123, v121
	v_add_f16_e32 v137, v102, v100
	v_add_f16_e32 v138, v104, v106
	v_sub_f16_e32 v139, v102, v100
	v_sub_f16_e32 v140, v104, v106
	;; [unrolled: 1-line block ×4, first 2 shown]
	v_add_f16_e32 v117, v117, v125
	v_add_f16_e32 v118, v118, v126
	v_sub_f16_e32 v101, v97, v101
	v_sub_f16_e32 v103, v107, v103
	v_sub_f16_e32 v136, v122, v120
	v_sub_f16_e32 v119, v119, v123
	v_sub_f16_e32 v120, v120, v124
	v_sub_f16_e32 v122, v124, v122
	v_add_f16_e32 v97, v129, v97
	v_add_f16_e32 v107, v130, v107
	v_mul_f16_e32 v113, 0x3a52, v113
	v_mul_f16_e32 v114, 0x3a52, v114
	;; [unrolled: 1-line block ×8, first 2 shown]
	v_add_f16_e32 v123, v123, v133
	v_add_f16_e32 v124, v124, v134
	v_sub_f16_e32 v102, v98, v102
	v_sub_f16_e32 v104, v108, v104
	v_add_f16_e32 v98, v137, v98
	v_add_f16_e32 v108, v138, v108
	v_mul_f16_e32 v133, 0x2b26, v121
	v_mul_f16_e32 v137, 0xb846, v139
	;; [unrolled: 1-line block ×5, first 2 shown]
	s_waitcnt lgkmcnt(0)
	v_add_f16_e32 v141, v111, v117
	v_add_f16_sdwa v111, v111, v118 dst_sel:DWORD dst_unused:UNUSED_PAD src0_sel:WORD_1 src1_sel:DWORD
	v_mul_f16_e32 v119, 0x3a52, v119
	v_mul_f16_e32 v120, 0x3a52, v120
	v_fmamk_f16 v115, v115, 0x2b26, v113
	v_fmamk_f16 v116, v116, 0x2b26, v114
	v_fma_f16 v125, v127, 0x39e0, -v125
	v_fma_f16 v126, v128, 0x39e0, -v126
	;; [unrolled: 1-line block ×4, first 2 shown]
	v_fmamk_f16 v127, v101, 0x3574, v129
	v_fmamk_f16 v128, v103, 0x3574, v130
	v_fma_f16 v99, v99, 0x3b00, -v129
	v_fma_f16 v105, v105, 0x3b00, -v130
	;; [unrolled: 1-line block ×4, first 2 shown]
	v_add_f16_e32 v129, v112, v123
	v_add_f16_sdwa v112, v112, v124 dst_sel:DWORD dst_unused:UNUSED_PAD src0_sel:WORD_1 src1_sel:DWORD
	v_mul_f16_e32 v134, 0x2b26, v122
	v_fma_f16 v130, v135, 0x39e0, -v133
	v_fmamk_f16 v132, v102, 0x3574, v137
	v_fmamk_f16 v133, v104, 0x3574, v138
	v_fma_f16 v100, v100, 0x3b00, -v137
	v_fma_f16 v106, v106, 0x3b00, -v138
	;; [unrolled: 1-line block ×4, first 2 shown]
	v_fmamk_f16 v117, v117, 0xbcab, v141
	v_fmamk_f16 v118, v118, 0xbcab, v111
	;; [unrolled: 1-line block ×4, first 2 shown]
	v_fmac_f16_e32 v127, 0x370e, v97
	v_fmac_f16_e32 v128, 0x370e, v107
	;; [unrolled: 1-line block ×6, first 2 shown]
	v_fmamk_f16 v97, v123, 0xbcab, v129
	v_fmamk_f16 v107, v124, 0xbcab, v112
	v_fma_f16 v131, v136, 0x39e0, -v134
	v_fma_f16 v119, v135, 0xb9e0, -v119
	;; [unrolled: 1-line block ×3, first 2 shown]
	v_fmac_f16_e32 v132, 0x370e, v98
	v_fmac_f16_e32 v133, 0x370e, v108
	;; [unrolled: 1-line block ×6, first 2 shown]
	v_pack_b32_f16 v98, v141, v111
	v_pack_b32_f16 v108, v129, v112
	v_add_f16_e32 v111, v115, v117
	v_add_f16_e32 v112, v116, v118
	;; [unrolled: 1-line block ×13, first 2 shown]
	v_sub_f16_e32 v120, v112, v127
	v_add_f16_e32 v123, v103, v113
	v_sub_f16_e32 v124, v114, v101
	v_sub_f16_e32 v125, v115, v105
	v_add_f16_e32 v126, v99, v116
	v_add_f16_e32 v105, v105, v115
	v_sub_f16_e32 v99, v116, v99
	v_sub_f16_e32 v103, v113, v103
	v_add_f16_e32 v101, v101, v114
	;; [unrolled: 4-line block ×5, first 2 shown]
	v_sub_f16_e32 v104, v117, v133
	v_add_f16_e32 v107, v132, v118
	v_pack_b32_f16 v117, v119, v120
	v_pack_b32_f16 v118, v123, v124
	;; [unrolled: 1-line block ×12, first 2 shown]
	ds_write_b32 v64, v117 offset:1008
	ds_write_b32 v64, v118 offset:2016
	;; [unrolled: 1-line block ×6, first 2 shown]
	ds_write2_b32 v64, v98, v108 offset1:126
	ds_write_b32 v64, v105 offset:1512
	ds_write_b32 v64, v111 offset:2520
	;; [unrolled: 1-line block ×6, first 2 shown]
	s_waitcnt lgkmcnt(0)
	s_barrier
	buffer_gl0_inv
	global_load_dword v105, v[109:110], off offset:912
	v_add_co_u32 v97, s0, 0x1b90, v96
	v_add_co_ci_u32_e64 v98, s0, 0, v95, s0
	v_add_co_u32 v99, s0, 0x2800, v96
	v_add_co_ci_u32_e64 v100, s0, 0, v95, s0
	global_load_dword v107, v[97:98], off offset:504
	v_add_co_u32 v101, s0, 0x3000, v96
	v_add_co_u32 v103, s1, 0x2000, v96
	s_clause 0x1
	global_load_dword v108, v[99:100], off offset:344
	global_load_dword v109, v[99:100], off offset:848
	v_add_co_ci_u32_e64 v102, s0, 0, v95, s0
	s_clause 0x1
	global_load_dword v110, v[97:98], off offset:1008
	global_load_dword v111, v[99:100], off offset:1352
	v_add_co_ci_u32_e64 v104, s0, 0, v95, s1
	s_clause 0x7
	global_load_dword v112, v[97:98], off offset:1512
	global_load_dword v113, v[99:100], off offset:1856
	;; [unrolled: 1-line block ×8, first 2 shown]
	ds_read2_b32 v[95:96], v64 offset1:126
	v_add_nc_u32_e32 v120, 0xc00, v64
	v_add_nc_u32_e32 v123, 0x1000, v64
	;; [unrolled: 1-line block ×4, first 2 shown]
	s_waitcnt lgkmcnt(0)
	v_lshrrev_b32_e32 v97, 16, v95
	s_waitcnt vmcnt(13)
	v_mul_f16_sdwa v98, v97, v105 dst_sel:DWORD dst_unused:UNUSED_PAD src0_sel:DWORD src1_sel:WORD_1
	v_mul_f16_sdwa v99, v95, v105 dst_sel:DWORD dst_unused:UNUSED_PAD src0_sel:DWORD src1_sel:WORD_1
	v_fma_f16 v95, v95, v105, -v98
	v_fmac_f16_e32 v99, v97, v105
	s_waitcnt vmcnt(12)
	v_mul_f16_sdwa v122, v96, v107 dst_sel:DWORD dst_unused:UNUSED_PAD src0_sel:DWORD src1_sel:WORD_1
	v_pack_b32_f16 v95, v95, v99
	ds_write_b32 v64, v95
	v_lshrrev_b32_e32 v95, 16, v96
	ds_read2_b32 v[97:98], v94 offset0:116 offset1:242
	ds_read2_b32 v[99:100], v93 offset0:112 offset1:238
	;; [unrolled: 1-line block ×5, first 2 shown]
	v_mul_f16_sdwa v121, v95, v107 dst_sel:DWORD dst_unused:UNUSED_PAD src0_sel:DWORD src1_sel:WORD_1
	v_fmac_f16_e32 v122, v95, v107
	v_fma_f16 v121, v96, v107, -v121
	ds_read2_b32 v[95:96], v90 offset0:104 offset1:230
	v_add_nc_u32_e32 v107, 0x400, v64
	v_pack_b32_f16 v121, v121, v122
	s_waitcnt lgkmcnt(5)
	v_lshrrev_b32_e32 v122, 16, v98
	s_waitcnt vmcnt(11)
	v_mul_f16_sdwa v126, v98, v108 dst_sel:DWORD dst_unused:UNUSED_PAD src0_sel:DWORD src1_sel:WORD_1
	s_waitcnt lgkmcnt(4)
	v_lshrrev_b32_e32 v127, 16, v99
	s_waitcnt vmcnt(10)
	v_mul_f16_sdwa v128, v99, v109 dst_sel:DWORD dst_unused:UNUSED_PAD src0_sel:DWORD src1_sel:WORD_1
	s_waitcnt lgkmcnt(3)
	v_lshrrev_b32_e32 v129, 16, v101
	s_waitcnt vmcnt(9)
	v_mul_f16_sdwa v130, v101, v110 dst_sel:DWORD dst_unused:UNUSED_PAD src0_sel:DWORD src1_sel:WORD_1
	v_lshrrev_b32_e32 v131, 16, v100
	s_waitcnt vmcnt(8)
	v_mul_f16_sdwa v132, v100, v111 dst_sel:DWORD dst_unused:UNUSED_PAD src0_sel:DWORD src1_sel:WORD_1
	v_lshrrev_b32_e32 v133, 16, v102
	s_waitcnt vmcnt(7)
	v_mul_f16_sdwa v134, v102, v112 dst_sel:DWORD dst_unused:UNUSED_PAD src0_sel:DWORD src1_sel:WORD_1
	s_waitcnt lgkmcnt(2)
	v_lshrrev_b32_e32 v135, 16, v103
	s_waitcnt vmcnt(6)
	v_mul_f16_sdwa v136, v103, v113 dst_sel:DWORD dst_unused:UNUSED_PAD src0_sel:DWORD src1_sel:WORD_1
	s_waitcnt lgkmcnt(1)
	v_lshrrev_b32_e32 v137, 16, v105
	s_waitcnt vmcnt(5)
	v_mul_f16_sdwa v138, v105, v114 dst_sel:DWORD dst_unused:UNUSED_PAD src0_sel:DWORD src1_sel:WORD_1
	v_lshrrev_b32_e32 v139, 16, v104
	s_waitcnt vmcnt(4)
	v_mul_f16_sdwa v140, v104, v115 dst_sel:DWORD dst_unused:UNUSED_PAD src0_sel:DWORD src1_sel:WORD_1
	;; [unrolled: 3-line block ×3, first 2 shown]
	s_waitcnt lgkmcnt(0)
	v_lshrrev_b32_e32 v143, 16, v95
	s_waitcnt vmcnt(2)
	v_mul_f16_sdwa v144, v95, v117 dst_sel:DWORD dst_unused:UNUSED_PAD src0_sel:DWORD src1_sel:WORD_1
	v_lshrrev_b32_e32 v145, 16, v97
	s_waitcnt vmcnt(1)
	v_mul_f16_sdwa v146, v97, v118 dst_sel:DWORD dst_unused:UNUSED_PAD src0_sel:DWORD src1_sel:WORD_1
	v_lshrrev_b32_e32 v147, 16, v96
	v_mul_f16_sdwa v149, v122, v108 dst_sel:DWORD dst_unused:UNUSED_PAD src0_sel:DWORD src1_sel:WORD_1
	v_fmac_f16_e32 v126, v122, v108
	v_mul_f16_sdwa v122, v127, v109 dst_sel:DWORD dst_unused:UNUSED_PAD src0_sel:DWORD src1_sel:WORD_1
	v_fmac_f16_e32 v128, v127, v109
	;; [unrolled: 2-line block ×6, first 2 shown]
	v_mul_f16_sdwa v135, v137, v114 dst_sel:DWORD dst_unused:UNUSED_PAD src0_sel:DWORD src1_sel:WORD_1
	s_waitcnt vmcnt(0)
	v_mul_f16_sdwa v148, v96, v119 dst_sel:DWORD dst_unused:UNUSED_PAD src0_sel:DWORD src1_sel:WORD_1
	v_fmac_f16_e32 v138, v137, v114
	v_mul_f16_sdwa v137, v139, v115 dst_sel:DWORD dst_unused:UNUSED_PAD src0_sel:DWORD src1_sel:WORD_1
	v_fmac_f16_e32 v140, v139, v115
	;; [unrolled: 2-line block ×5, first 2 shown]
	v_mul_f16_sdwa v145, v147, v119 dst_sel:DWORD dst_unused:UNUSED_PAD src0_sel:DWORD src1_sel:WORD_1
	v_fma_f16 v98, v98, v108, -v149
	v_fma_f16 v99, v99, v109, -v122
	;; [unrolled: 1-line block ×7, first 2 shown]
	v_fmac_f16_e32 v148, v147, v119
	v_fma_f16 v104, v104, v115, -v137
	v_fma_f16 v106, v106, v116, -v139
	;; [unrolled: 1-line block ×5, first 2 shown]
	v_pack_b32_f16 v98, v98, v126
	v_pack_b32_f16 v99, v99, v128
	;; [unrolled: 1-line block ×12, first 2 shown]
	ds_write2_b32 v120, v98, v99 offset0:114 offset1:240
	ds_write2_b32 v64, v121, v101 offset0:126 offset1:252
	;; [unrolled: 1-line block ×6, first 2 shown]
	ds_write_b32 v64, v96 offset:6552
	s_waitcnt lgkmcnt(0)
	s_barrier
	buffer_gl0_inv
	ds_read2_b32 v[95:96], v64 offset1:126
	ds_read2_b32 v[97:98], v94 offset0:116 offset1:242
	ds_read2_b32 v[99:100], v93 offset0:112 offset1:238
	;; [unrolled: 1-line block ×6, first 2 shown]
	s_waitcnt lgkmcnt(0)
	s_barrier
	buffer_gl0_inv
	v_pk_add_f16 v109, v95, v98 neg_lo:[0,1] neg_hi:[0,1]
	v_pk_add_f16 v99, v96, v99 neg_lo:[0,1] neg_hi:[0,1]
	;; [unrolled: 1-line block ×7, first 2 shown]
	v_pk_fma_f16 v108, v95, 2.0, v109 op_sel_hi:[1,0,1] neg_lo:[0,0,1] neg_hi:[0,0,1]
	v_pk_fma_f16 v98, v96, 2.0, v99 op_sel_hi:[1,0,1] neg_lo:[0,0,1] neg_hi:[0,0,1]
	;; [unrolled: 1-line block ×7, first 2 shown]
	ds_write_b64 v38, v[108:109]
	ds_write_b64 v42, v[98:99]
	;; [unrolled: 1-line block ×7, first 2 shown]
	s_waitcnt lgkmcnt(0)
	s_barrier
	buffer_gl0_inv
	ds_read2_b32 v[38:39], v64 offset1:126
	ds_read2_b32 v[40:41], v94 offset0:116 offset1:242
	ds_read2_b32 v[87:88], v93 offset0:112 offset1:238
	;; [unrolled: 1-line block ×6, first 2 shown]
	s_waitcnt lgkmcnt(0)
	s_barrier
	buffer_gl0_inv
	v_lshrrev_b32_e32 v42, 16, v38
	v_lshrrev_b32_e32 v100, 16, v41
	;; [unrolled: 1-line block ×3, first 2 shown]
	v_mul_f16_sdwa v113, v37, v41 dst_sel:DWORD dst_unused:UNUSED_PAD src0_sel:WORD_1 src1_sel:DWORD
	v_lshrrev_b32_e32 v104, 16, v88
	v_mul_f16_sdwa v114, v37, v87 dst_sel:DWORD dst_unused:UNUSED_PAD src0_sel:WORD_1 src1_sel:DWORD
	v_lshrrev_b32_e32 v106, 16, v96
	;; [unrolled: 2-line block ×4, first 2 shown]
	v_lshrrev_b32_e32 v112, 16, v93
	v_mul_f16_sdwa v117, v37, v97 dst_sel:DWORD dst_unused:UNUSED_PAD src0_sel:WORD_1 src1_sel:DWORD
	v_mul_f16_sdwa v118, v37, v92 dst_sel:DWORD dst_unused:UNUSED_PAD src0_sel:WORD_1 src1_sel:DWORD
	;; [unrolled: 1-line block ×3, first 2 shown]
	v_fma_f16 v100, v37, v100, -v113
	v_mul_f16_sdwa v113, v37, v102 dst_sel:DWORD dst_unused:UNUSED_PAD src0_sel:WORD_1 src1_sel:DWORD
	v_fma_f16 v102, v37, v102, -v114
	v_mul_f16_sdwa v114, v37, v104 dst_sel:DWORD dst_unused:UNUSED_PAD src0_sel:WORD_1 src1_sel:DWORD
	v_fma_f16 v104, v37, v104, -v115
	v_mul_f16_sdwa v115, v37, v106 dst_sel:DWORD dst_unused:UNUSED_PAD src0_sel:WORD_1 src1_sel:DWORD
	v_mul_f16_sdwa v119, v37, v93 dst_sel:DWORD dst_unused:UNUSED_PAD src0_sel:WORD_1 src1_sel:DWORD
	v_fma_f16 v106, v37, v106, -v116
	v_mul_f16_sdwa v116, v37, v108 dst_sel:DWORD dst_unused:UNUSED_PAD src0_sel:WORD_1 src1_sel:DWORD
	v_lshrrev_b32_e32 v103, 16, v94
	v_fma_f16 v108, v37, v108, -v117
	v_mul_f16_sdwa v117, v37, v110 dst_sel:DWORD dst_unused:UNUSED_PAD src0_sel:WORD_1 src1_sel:DWORD
	v_fma_f16 v110, v37, v110, -v118
	v_mul_f16_sdwa v118, v37, v112 dst_sel:DWORD dst_unused:UNUSED_PAD src0_sel:WORD_1 src1_sel:DWORD
	v_fmac_f16_e32 v121, v37, v41
	v_lshrrev_b32_e32 v101, 16, v39
	v_lshrrev_b32_e32 v105, 16, v95
	v_fmac_f16_e32 v113, v37, v87
	v_lshrrev_b32_e32 v107, 16, v98
	v_fmac_f16_e32 v114, v37, v88
	v_lshrrev_b32_e32 v109, 16, v99
	v_fmac_f16_e32 v115, v37, v96
	v_lshrrev_b32_e32 v111, 16, v40
	v_fma_f16 v112, v37, v112, -v119
	v_fmac_f16_e32 v116, v37, v97
	v_fmac_f16_e32 v117, v37, v92
	;; [unrolled: 1-line block ×3, first 2 shown]
	v_sub_f16_e32 v37, v42, v100
	v_sub_f16_e32 v96, v103, v104
	;; [unrolled: 1-line block ×12, first 2 shown]
	v_fma_f16 v42, v42, 2.0, -v37
	v_sub_f16_e32 v113, v99, v117
	v_sub_f16_e32 v93, v40, v118
	v_fma_f16 v38, v38, 2.0, -v104
	v_fma_f16 v101, v101, 2.0, -v41
	;; [unrolled: 1-line block ×13, first 2 shown]
	v_pack_b32_f16 v37, v104, v37
	v_pack_b32_f16 v38, v38, v42
	;; [unrolled: 1-line block ×14, first 2 shown]
	ds_write2_b32 v43, v38, v37 offset1:2
	ds_write2_b32 v44, v39, v40 offset1:2
	;; [unrolled: 1-line block ×7, first 2 shown]
	s_waitcnt lgkmcnt(0)
	s_barrier
	buffer_gl0_inv
	ds_read2_b32 v[39:40], v64 offset1:126
	ds_read2_b32 v[47:48], v125 offset0:76 offset1:202
	ds_read2_b32 v[45:46], v91 offset0:24 offset1:150
	ds_read2_b32 v[37:38], v89 offset0:124 offset1:250
	ds_read2_b32 v[43:44], v120 offset0:72 offset1:198
	ds_read2_b32 v[41:42], v90 offset0:20 offset1:146
	s_and_saveexec_b32 s0, vcc_lo
	s_cbranch_execz .LBB0_11
; %bb.10:
	ds_read_b32 v87, v64 offset:2016
	ds_read_b32 v93, v64 offset:4368
	;; [unrolled: 1-line block ×3, first 2 shown]
	s_waitcnt lgkmcnt(2)
	v_lshrrev_b32_e32 v88, 16, v87
	s_waitcnt lgkmcnt(1)
	v_lshrrev_b32_e32 v92, 16, v93
	;; [unrolled: 2-line block ×3, first 2 shown]
.LBB0_11:
	s_or_b32 exec_lo, exec_lo, s0
	s_waitcnt lgkmcnt(4)
	v_lshrrev_b32_e32 v66, 16, v47
	s_waitcnt lgkmcnt(3)
	v_lshrrev_b32_e32 v90, 16, v45
	v_lshrrev_b32_e32 v94, 16, v48
	v_mul_f16_sdwa v102, v17, v47 dst_sel:DWORD dst_unused:UNUSED_PAD src0_sel:WORD_1 src1_sel:DWORD
	v_lshrrev_b32_e32 v95, 16, v46
	v_mul_f16_sdwa v100, v17, v66 dst_sel:DWORD dst_unused:UNUSED_PAD src0_sel:WORD_1 src1_sel:DWORD
	v_mul_f16_sdwa v104, v18, v90 dst_sel:DWORD dst_unused:UNUSED_PAD src0_sel:WORD_1 src1_sel:DWORD
	s_waitcnt lgkmcnt(1)
	v_lshrrev_b32_e32 v97, 16, v43
	v_fma_f16 v66, v17, v66, -v102
	v_mul_f16_sdwa v102, v68, v94 dst_sel:DWORD dst_unused:UNUSED_PAD src0_sel:WORD_1 src1_sel:DWORD
	v_fmac_f16_e32 v100, v17, v47
	v_mul_f16_sdwa v47, v18, v45 dst_sel:DWORD dst_unused:UNUSED_PAD src0_sel:WORD_1 src1_sel:DWORD
	s_waitcnt lgkmcnt(0)
	v_lshrrev_b32_e32 v98, 16, v41
	v_fmac_f16_e32 v104, v18, v45
	v_mul_f16_sdwa v45, v68, v48 dst_sel:DWORD dst_unused:UNUSED_PAD src0_sel:WORD_1 src1_sel:DWORD
	v_fmac_f16_e32 v102, v76, v48
	v_fma_f16 v47, v18, v90, -v47
	v_mul_f16_sdwa v90, v69, v95 dst_sel:DWORD dst_unused:UNUSED_PAD src0_sel:WORD_1 src1_sel:DWORD
	v_mul_f16_sdwa v48, v69, v46 dst_sel:DWORD dst_unused:UNUSED_PAD src0_sel:WORD_1 src1_sel:DWORD
	v_lshrrev_b32_e32 v101, 16, v44
	v_lshrrev_b32_e32 v103, 16, v42
	v_fma_f16 v45, v76, v94, -v45
	v_mul_f16_sdwa v76, v17, v97 dst_sel:DWORD dst_unused:UNUSED_PAD src0_sel:WORD_1 src1_sel:DWORD
	v_fmac_f16_e32 v90, v78, v46
	v_fma_f16 v48, v78, v95, -v48
	v_mul_f16_sdwa v78, v18, v98 dst_sel:DWORD dst_unused:UNUSED_PAD src0_sel:WORD_1 src1_sel:DWORD
	v_mul_f16_sdwa v46, v17, v43 dst_sel:DWORD dst_unused:UNUSED_PAD src0_sel:WORD_1 src1_sel:DWORD
	v_fmac_f16_e32 v76, v17, v43
	v_mul_f16_sdwa v43, v18, v41 dst_sel:DWORD dst_unused:UNUSED_PAD src0_sel:WORD_1 src1_sel:DWORD
	v_mul_f16_e32 v94, v70, v101
	v_fmac_f16_e32 v78, v18, v41
	v_mul_f16_e32 v41, v70, v44
	v_mul_f16_e32 v70, v74, v103
	v_lshrrev_b32_e32 v89, 16, v39
	v_fmac_f16_e32 v94, v68, v44
	v_mul_f16_e32 v44, v74, v42
	v_fma_f16 v41, v68, v101, -v41
	v_mul_f16_sdwa v68, v17, v92 dst_sel:DWORD dst_unused:UNUSED_PAD src0_sel:WORD_1 src1_sel:DWORD
	v_fmac_f16_e32 v70, v69, v42
	v_mul_f16_sdwa v42, v17, v93 dst_sel:DWORD dst_unused:UNUSED_PAD src0_sel:WORD_1 src1_sel:DWORD
	v_fma_f16 v46, v17, v97, -v46
	v_fma_f16 v44, v69, v103, -v44
	v_mul_f16_sdwa v69, v18, v86 dst_sel:DWORD dst_unused:UNUSED_PAD src0_sel:WORD_1 src1_sel:DWORD
	v_fmac_f16_e32 v68, v17, v93
	v_mul_f16_sdwa v74, v18, v85 dst_sel:DWORD dst_unused:UNUSED_PAD src0_sel:WORD_1 src1_sel:DWORD
	v_fma_f16 v17, v17, v92, -v42
	v_add_f16_e32 v42, v100, v104
	v_fma_f16 v43, v18, v98, -v43
	v_fmac_f16_e32 v69, v18, v85
	v_add_f16_e32 v85, v39, v100
	v_fma_f16 v18, v18, v86, -v74
	v_add_f16_e32 v74, v66, v47
	v_fma_f16 v39, -0.5, v42, v39
	v_sub_f16_e32 v42, v66, v47
	v_add_f16_e32 v66, v89, v66
	v_lshrrev_b32_e32 v91, 16, v40
	v_fmac_f16_e32 v89, -0.5, v74
	v_sub_f16_e32 v74, v100, v104
	v_fmamk_f16 v86, v42, 0xbaee, v39
	v_fmac_f16_e32 v39, 0x3aee, v42
	v_add_f16_e32 v42, v66, v47
	v_add_f16_e32 v47, v102, v90
	v_fmamk_f16 v92, v74, 0x3aee, v89
	v_add_f16_e32 v66, v40, v102
	v_fmac_f16_e32 v89, 0xbaee, v74
	v_add_f16_e32 v74, v45, v48
	v_fmac_f16_e32 v40, -0.5, v47
	v_sub_f16_e32 v47, v45, v48
	v_lshrrev_b32_e32 v96, 16, v37
	v_add_f16_e32 v93, v66, v90
	v_add_f16_e32 v45, v91, v45
	v_fmac_f16_e32 v91, -0.5, v74
	v_sub_f16_e32 v66, v102, v90
	v_fmamk_f16 v74, v47, 0xbaee, v40
	v_fmac_f16_e32 v40, 0x3aee, v47
	v_add_f16_e32 v47, v76, v78
	v_add_f16_e32 v45, v45, v48
	v_fmamk_f16 v90, v66, 0x3aee, v91
	v_add_f16_e32 v48, v37, v76
	v_fmac_f16_e32 v91, 0xbaee, v66
	v_add_f16_e32 v66, v46, v43
	v_fma_f16 v37, -0.5, v47, v37
	v_sub_f16_e32 v47, v46, v43
	v_add_f16_e32 v46, v96, v46
	v_lshrrev_b32_e32 v99, 16, v38
	v_add_f16_e32 v95, v48, v78
	v_fmac_f16_e32 v96, -0.5, v66
	v_sub_f16_e32 v48, v76, v78
	v_add_f16_e32 v43, v46, v43
	v_add_f16_e32 v46, v94, v70
	v_fmamk_f16 v76, v47, 0xbaee, v37
	v_fmac_f16_e32 v37, 0x3aee, v47
	v_fmamk_f16 v78, v48, 0x3aee, v96
	v_add_f16_e32 v47, v38, v94
	v_fmac_f16_e32 v96, 0xbaee, v48
	v_add_f16_e32 v48, v41, v44
	v_fmac_f16_e32 v38, -0.5, v46
	v_sub_f16_e32 v46, v41, v44
	v_add_f16_e32 v41, v99, v41
	v_add_f16_e32 v97, v47, v70
	v_fmac_f16_e32 v99, -0.5, v48
	v_sub_f16_e32 v47, v94, v70
	v_add_f16_e32 v85, v85, v104
	v_add_f16_e32 v41, v41, v44
	;; [unrolled: 1-line block ×3, first 2 shown]
	v_fmamk_f16 v70, v46, 0xbaee, v38
	v_fmac_f16_e32 v38, 0x3aee, v46
	v_fmamk_f16 v46, v47, 0x3aee, v99
	v_fmac_f16_e32 v99, 0xbaee, v47
	v_add_f16_e32 v47, v18, v17
	v_add_f16_e32 v48, v87, v68
	v_fmac_f16_e32 v87, -0.5, v44
	v_sub_f16_e32 v44, v17, v18
	v_add_f16_e32 v17, v17, v88
	v_fmac_f16_e32 v88, -0.5, v47
	v_sub_f16_e32 v94, v68, v69
	v_add_f16_e32 v47, v69, v48
	v_pack_b32_f16 v39, v39, v89
	v_add_f16_e32 v48, v18, v17
	v_pack_b32_f16 v17, v85, v42
	v_pack_b32_f16 v18, v86, v92
	v_fmamk_f16 v66, v44, 0xbaee, v87
	v_fmac_f16_e32 v87, 0x3aee, v44
	v_pack_b32_f16 v42, v93, v45
	v_pack_b32_f16 v44, v74, v90
	v_fmamk_f16 v68, v94, 0x3aee, v88
	v_fmac_f16_e32 v88, 0xbaee, v94
	s_barrier
	buffer_gl0_inv
	ds_write2_b32 v75, v17, v18 offset1:4
	ds_write_b32 v75, v39 offset:32
	ds_write2_b32 v73, v42, v44 offset1:4
	v_pack_b32_f16 v17, v40, v91
	v_pack_b32_f16 v18, v95, v43
	;; [unrolled: 1-line block ×7, first 2 shown]
	ds_write_b32 v73, v17 offset:32
	ds_write2_b32 v72, v18, v39 offset1:4
	ds_write_b32 v72, v37 offset:32
	ds_write2_b32 v71, v40, v41 offset1:4
	ds_write_b32 v71, v38 offset:32
	s_and_saveexec_b32 s0, vcc_lo
	s_cbranch_execz .LBB0_13
; %bb.12:
	v_mul_u32_u24_e32 v17, 12, v67
	v_perm_b32 v18, v48, v47, 0x5040100
	v_perm_b32 v37, v68, v66, 0x5040100
	;; [unrolled: 1-line block ×3, first 2 shown]
	v_or_b32_e32 v17, v17, v65
	v_lshlrev_b32_e32 v17, 2, v17
	ds_write2_b32 v17, v18, v37 offset1:4
	ds_write_b32 v17, v38 offset:32
.LBB0_13:
	s_or_b32 exec_lo, exec_lo, s0
	v_add_nc_u32_e32 v37, 0x800, v64
	v_add_nc_u32_e32 v38, 0x1200, v64
	;; [unrolled: 1-line block ×5, first 2 shown]
	s_waitcnt lgkmcnt(0)
	s_barrier
	buffer_gl0_inv
	ds_read2_b32 v[17:18], v64 offset1:126
	ds_read2_b32 v[45:46], v37 offset0:76 offset1:202
	ds_read2_b32 v[43:44], v38 offset0:24 offset1:150
	;; [unrolled: 1-line block ×5, first 2 shown]
	s_and_saveexec_b32 s0, vcc_lo
	s_cbranch_execz .LBB0_15
; %bb.14:
	ds_read_b32 v47, v64 offset:2016
	ds_read_b32 v66, v64 offset:4368
	;; [unrolled: 1-line block ×3, first 2 shown]
	s_waitcnt lgkmcnt(2)
	v_lshrrev_b32_e32 v48, 16, v47
	s_waitcnt lgkmcnt(1)
	v_lshrrev_b32_e32 v68, 16, v66
	;; [unrolled: 2-line block ×3, first 2 shown]
.LBB0_15:
	s_or_b32 exec_lo, exec_lo, s0
	s_waitcnt lgkmcnt(4)
	v_lshrrev_b32_e32 v67, 16, v45
	s_waitcnt lgkmcnt(3)
	v_lshrrev_b32_e32 v69, 16, v43
	v_lshrrev_b32_e32 v71, 16, v46
	v_mul_f16_sdwa v86, v27, v45 dst_sel:DWORD dst_unused:UNUSED_PAD src0_sel:WORD_1 src1_sel:DWORD
	v_lshrrev_b32_e32 v72, 16, v44
	v_mul_f16_sdwa v78, v27, v67 dst_sel:DWORD dst_unused:UNUSED_PAD src0_sel:WORD_1 src1_sel:DWORD
	v_mul_f16_sdwa v90, v28, v69 dst_sel:DWORD dst_unused:UNUSED_PAD src0_sel:WORD_1 src1_sel:DWORD
	s_waitcnt lgkmcnt(1)
	v_lshrrev_b32_e32 v74, 16, v41
	s_waitcnt lgkmcnt(0)
	v_lshrrev_b32_e32 v75, 16, v39
	v_lshrrev_b32_e32 v85, 16, v42
	v_fmac_f16_e32 v78, v27, v45
	v_mul_f16_sdwa v45, v28, v43 dst_sel:DWORD dst_unused:UNUSED_PAD src0_sel:WORD_1 src1_sel:DWORD
	v_fma_f16 v27, v27, v67, -v86
	v_mul_f16_sdwa v67, v25, v71 dst_sel:DWORD dst_unused:UNUSED_PAD src0_sel:WORD_1 src1_sel:DWORD
	v_fmac_f16_e32 v90, v28, v43
	v_mul_f16_sdwa v43, v25, v46 dst_sel:DWORD dst_unused:UNUSED_PAD src0_sel:WORD_1 src1_sel:DWORD
	v_fma_f16 v28, v28, v69, -v45
	v_mul_f16_sdwa v45, v26, v72 dst_sel:DWORD dst_unused:UNUSED_PAD src0_sel:WORD_1 src1_sel:DWORD
	;; [unrolled: 4-line block ×4, first 2 shown]
	v_lshrrev_b32_e32 v89, 16, v40
	v_fmac_f16_e32 v43, v23, v41
	v_mul_f16_sdwa v41, v24, v39 dst_sel:DWORD dst_unused:UNUSED_PAD src0_sel:WORD_1 src1_sel:DWORD
	v_fma_f16 v23, v23, v74, -v44
	v_mul_f16_sdwa v44, v21, v85 dst_sel:DWORD dst_unused:UNUSED_PAD src0_sel:WORD_1 src1_sel:DWORD
	v_fmac_f16_e32 v46, v24, v39
	v_mul_f16_sdwa v39, v21, v42 dst_sel:DWORD dst_unused:UNUSED_PAD src0_sel:WORD_1 src1_sel:DWORD
	v_fma_f16 v24, v24, v75, -v41
	v_mul_f16_sdwa v41, v22, v89 dst_sel:DWORD dst_unused:UNUSED_PAD src0_sel:WORD_1 src1_sel:DWORD
	v_fmac_f16_e32 v44, v21, v42
	v_mul_f16_sdwa v42, v22, v40 dst_sel:DWORD dst_unused:UNUSED_PAD src0_sel:WORD_1 src1_sel:DWORD
	v_lshrrev_b32_e32 v65, 16, v17
	v_fma_f16 v21, v21, v85, -v39
	v_add_f16_e32 v39, v78, v90
	v_fmac_f16_e32 v41, v22, v40
	v_fma_f16 v22, v22, v89, -v42
	v_add_f16_e32 v42, v27, v28
	v_add_f16_e32 v40, v17, v78
	v_fma_f16 v17, -0.5, v39, v17
	v_sub_f16_e32 v39, v27, v28
	v_add_f16_e32 v27, v65, v27
	v_fmac_f16_e32 v65, -0.5, v42
	v_sub_f16_e32 v42, v78, v90
	v_lshrrev_b32_e32 v70, 16, v18
	v_fmamk_f16 v69, v39, 0xbaee, v17
	v_add_f16_e32 v27, v27, v28
	v_add_f16_e32 v28, v67, v45
	v_fmac_f16_e32 v17, 0x3aee, v39
	v_fmamk_f16 v39, v42, 0x3aee, v65
	v_fmac_f16_e32 v65, 0xbaee, v42
	v_add_f16_e32 v42, v25, v26
	v_add_f16_e32 v71, v18, v67
	v_fmac_f16_e32 v18, -0.5, v28
	v_sub_f16_e32 v28, v25, v26
	v_add_f16_e32 v25, v70, v25
	v_fmac_f16_e32 v70, -0.5, v42
	v_sub_f16_e32 v42, v67, v45
	v_lshrrev_b32_e32 v73, 16, v37
	v_add_f16_e32 v71, v71, v45
	v_add_f16_e32 v25, v25, v26
	v_add_f16_e32 v26, v43, v46
	v_fmamk_f16 v45, v28, 0xbaee, v18
	v_fmac_f16_e32 v18, 0x3aee, v28
	v_fmamk_f16 v28, v42, 0x3aee, v70
	v_fmac_f16_e32 v70, 0xbaee, v42
	v_add_f16_e32 v42, v23, v24
	v_add_f16_e32 v67, v37, v43
	v_fma_f16 v26, -0.5, v26, v37
	v_sub_f16_e32 v37, v23, v24
	v_add_f16_e32 v23, v73, v23
	v_fmac_f16_e32 v73, -0.5, v42
	v_sub_f16_e32 v42, v43, v46
	v_lshrrev_b32_e32 v76, 16, v38
	v_fmamk_f16 v43, v37, 0xbaee, v26
	v_add_f16_e32 v23, v23, v24
	v_add_f16_e32 v24, v44, v41
	v_fmac_f16_e32 v26, 0x3aee, v37
	v_fmamk_f16 v37, v42, 0x3aee, v73
	v_fmac_f16_e32 v73, 0xbaee, v42
	v_add_f16_e32 v42, v21, v22
	v_add_f16_e32 v40, v40, v90
	v_add_f16_e32 v67, v67, v46
	v_add_f16_e32 v46, v38, v44
	v_fmac_f16_e32 v38, -0.5, v24
	v_sub_f16_e32 v24, v21, v22
	v_add_f16_e32 v21, v76, v21
	v_fmac_f16_e32 v76, -0.5, v42
	v_sub_f16_e32 v42, v44, v41
	v_pack_b32_f16 v17, v17, v65
	v_fmamk_f16 v44, v24, 0xbaee, v38
	v_fmac_f16_e32 v38, 0x3aee, v24
	v_pack_b32_f16 v24, v40, v27
	v_pack_b32_f16 v27, v69, v39
	;; [unrolled: 1-line block ×4, first 2 shown]
	v_add_f16_e32 v41, v46, v41
	v_add_f16_e32 v21, v21, v22
	v_fmamk_f16 v22, v42, 0x3aee, v76
	v_fmac_f16_e32 v76, 0xbaee, v42
	s_barrier
	buffer_gl0_inv
	ds_write2_b32 v82, v24, v27 offset1:12
	ds_write_b32 v82, v17 offset:96
	ds_write2_b32 v81, v25, v28 offset1:12
	v_pack_b32_f16 v17, v18, v70
	v_pack_b32_f16 v18, v67, v23
	;; [unrolled: 1-line block ×7, first 2 shown]
	ds_write_b32 v81, v17 offset:96
	ds_write2_b32 v80, v18, v23 offset1:12
	ds_write_b32 v80, v24 offset:96
	ds_write2_b32 v79, v21, v22 offset1:12
	ds_write_b32 v79, v25 offset:96
	s_and_saveexec_b32 s0, vcc_lo
	s_cbranch_execz .LBB0_17
; %bb.16:
	v_mul_f16_sdwa v17, v19, v68 dst_sel:DWORD dst_unused:UNUSED_PAD src0_sel:WORD_1 src1_sel:DWORD
	v_mul_f16_sdwa v18, v20, v88 dst_sel:DWORD dst_unused:UNUSED_PAD src0_sel:WORD_1 src1_sel:DWORD
	;; [unrolled: 1-line block ×4, first 2 shown]
	v_mov_b32_e32 v25, 2
	v_fmac_f16_e32 v17, v19, v66
	v_fmac_f16_e32 v18, v20, v87
	v_fma_f16 v19, v19, v68, -v21
	v_fma_f16 v20, v20, v88, -v22
	v_add_f16_e32 v23, v18, v17
	v_sub_f16_e32 v21, v17, v18
	v_add_f16_e32 v22, v20, v19
	v_sub_f16_e32 v24, v19, v20
	v_add_f16_e32 v19, v19, v48
	v_add_f16_e32 v17, v47, v17
	v_fma_f16 v23, -0.5, v23, v47
	v_fma_f16 v22, -0.5, v22, v48
	v_add_f16_e32 v19, v20, v19
	v_add_f16_e32 v17, v18, v17
	v_fmamk_f16 v20, v24, 0xbaee, v23
	v_fmamk_f16 v18, v21, 0x3aee, v22
	v_fmac_f16_e32 v22, 0xbaee, v21
	v_fmac_f16_e32 v23, 0x3aee, v24
	v_lshlrev_b32_sdwa v21, v25, v77 dst_sel:DWORD dst_unused:UNUSED_PAD src0_sel:DWORD src1_sel:WORD_0
	v_pack_b32_f16 v17, v17, v19
	v_pack_b32_f16 v18, v20, v18
	;; [unrolled: 1-line block ×3, first 2 shown]
	ds_write2_b32 v21, v17, v18 offset1:12
	ds_write_b32 v21, v19 offset:96
.LBB0_17:
	s_or_b32 exec_lo, exec_lo, s0
	v_add_nc_u32_e32 v20, 0x200, v64
	s_waitcnt lgkmcnt(0)
	s_barrier
	buffer_gl0_inv
	v_add_nc_u32_e32 v18, 0x600, v64
	ds_read2_b32 v[23:24], v20 offset0:124 offset1:250
	v_add_nc_u32_e32 v22, 0xa00, v64
	v_add_nc_u32_e32 v21, 0xe00, v64
	;; [unrolled: 1-line block ×4, first 2 shown]
	ds_read2_b32 v[25:26], v18 offset0:120 offset1:246
	ds_read2_b32 v[27:28], v22 offset0:116 offset1:242
	;; [unrolled: 1-line block ×5, first 2 shown]
	ds_read2_b32 v[43:44], v64 offset1:126
	s_waitcnt lgkmcnt(0)
	s_barrier
	buffer_gl0_inv
	s_mov_b32 s4, 0x5bb804a5
	s_mov_b32 s5, 0x3f429372
	s_mul_i32 s7, s8, 0xfffff430
	v_lshrrev_b32_e32 v46, 16, v25
	v_lshrrev_b32_e32 v45, 16, v23
	;; [unrolled: 1-line block ×5, first 2 shown]
	v_mul_f16_sdwa v72, v4, v23 dst_sel:DWORD dst_unused:UNUSED_PAD src0_sel:WORD_1 src1_sel:DWORD
	v_mul_f16_sdwa v73, v5, v25 dst_sel:DWORD dst_unused:UNUSED_PAD src0_sel:WORD_1 src1_sel:DWORD
	;; [unrolled: 1-line block ×4, first 2 shown]
	v_lshrrev_b32_e32 v66, 16, v41
	v_lshrrev_b32_e32 v67, 16, v24
	v_fma_f16 v45, v4, v45, -v72
	v_fma_f16 v46, v5, v46, -v73
	v_fmac_f16_e32 v74, v4, v23
	v_fmac_f16_e32 v75, v5, v25
	v_mul_f16_sdwa v4, v6, v47 dst_sel:DWORD dst_unused:UNUSED_PAD src0_sel:WORD_1 src1_sel:DWORD
	v_mul_f16_sdwa v5, v6, v27 dst_sel:DWORD dst_unused:UNUSED_PAD src0_sel:WORD_1 src1_sel:DWORD
	;; [unrolled: 1-line block ×5, first 2 shown]
	v_lshrrev_b32_e32 v68, 16, v26
	v_lshrrev_b32_e32 v69, 16, v28
	;; [unrolled: 1-line block ×3, first 2 shown]
	v_fmac_f16_e32 v4, v6, v27
	v_fma_f16 v5, v6, v47, -v5
	v_fmac_f16_e32 v23, v7, v37
	v_fma_f16 v6, v7, v48, -v25
	v_fmac_f16_e32 v72, v31, v39
	v_mul_f16_sdwa v7, v31, v39 dst_sel:DWORD dst_unused:UNUSED_PAD src0_sel:WORD_1 src1_sel:DWORD
	v_mul_f16_sdwa v25, v32, v66 dst_sel:DWORD dst_unused:UNUSED_PAD src0_sel:WORD_1 src1_sel:DWORD
	;; [unrolled: 1-line block ×5, first 2 shown]
	v_lshrrev_b32_e32 v71, 16, v40
	v_lshrrev_b32_e32 v76, 16, v42
	v_fma_f16 v7, v31, v65, -v7
	v_fmac_f16_e32 v25, v32, v41
	v_fma_f16 v27, v32, v66, -v27
	v_fmac_f16_e32 v37, v0, v24
	v_fma_f16 v0, v0, v67, -v39
	v_mul_f16_sdwa v24, v1, v68 dst_sel:DWORD dst_unused:UNUSED_PAD src0_sel:WORD_1 src1_sel:DWORD
	v_mul_f16_sdwa v31, v1, v26 dst_sel:DWORD dst_unused:UNUSED_PAD src0_sel:WORD_1 src1_sel:DWORD
	;; [unrolled: 1-line block ×5, first 2 shown]
	v_fmac_f16_e32 v24, v1, v26
	v_fma_f16 v1, v1, v68, -v31
	v_fmac_f16_e32 v32, v2, v28
	v_fma_f16 v2, v2, v69, -v39
	v_fmac_f16_e32 v41, v3, v38
	v_mul_f16_sdwa v26, v3, v38 dst_sel:DWORD dst_unused:UNUSED_PAD src0_sel:WORD_1 src1_sel:DWORD
	v_mul_f16_sdwa v28, v29, v71 dst_sel:DWORD dst_unused:UNUSED_PAD src0_sel:WORD_1 src1_sel:DWORD
	;; [unrolled: 1-line block ×5, first 2 shown]
	v_fma_f16 v3, v3, v70, -v26
	v_fmac_f16_e32 v28, v29, v40
	v_fma_f16 v26, v29, v71, -v31
	v_fmac_f16_e32 v38, v30, v42
	v_fma_f16 v29, v30, v76, -v39
	v_add_f16_e32 v30, v74, v25
	v_add_f16_e32 v31, v45, v27
	;; [unrolled: 1-line block ×4, first 2 shown]
	v_sub_f16_e32 v25, v74, v25
	v_sub_f16_e32 v27, v45, v27
	;; [unrolled: 1-line block ×4, first 2 shown]
	v_add_f16_e32 v45, v4, v23
	v_add_f16_e32 v46, v5, v6
	v_sub_f16_e32 v4, v23, v4
	v_sub_f16_e32 v5, v6, v5
	v_add_f16_e32 v6, v39, v30
	v_add_f16_e32 v23, v40, v31
	v_sub_f16_e32 v47, v39, v30
	v_sub_f16_e32 v48, v40, v31
	;; [unrolled: 1-line block ×6, first 2 shown]
	v_add_f16_e32 v65, v4, v42
	v_add_f16_e32 v66, v5, v7
	v_sub_f16_e32 v67, v4, v42
	v_sub_f16_e32 v68, v5, v7
	;; [unrolled: 1-line block ×3, first 2 shown]
	v_add_f16_e32 v6, v45, v6
	v_add_f16_e32 v23, v46, v23
	v_sub_f16_e32 v7, v7, v27
	v_sub_f16_e32 v4, v25, v4
	;; [unrolled: 1-line block ×3, first 2 shown]
	v_add_f16_e32 v25, v65, v25
	v_add_f16_e32 v27, v66, v27
	;; [unrolled: 1-line block ×3, first 2 shown]
	v_add_f16_sdwa v43, v43, v23 dst_sel:DWORD dst_unused:UNUSED_PAD src0_sel:WORD_1 src1_sel:DWORD
	v_mul_f16_e32 v30, 0x3a52, v30
	v_mul_f16_e32 v31, 0x3a52, v31
	;; [unrolled: 1-line block ×8, first 2 shown]
	v_fmamk_f16 v6, v6, 0xbcab, v45
	v_fmamk_f16 v23, v23, 0xbcab, v43
	;; [unrolled: 1-line block ×4, first 2 shown]
	v_fma_f16 v46, v47, 0x39e0, -v46
	v_fma_f16 v65, v48, 0x39e0, -v65
	;; [unrolled: 1-line block ×4, first 2 shown]
	v_fmamk_f16 v47, v4, 0xb574, v66
	v_fmamk_f16 v48, v5, 0xb574, v67
	v_fma_f16 v4, v4, 0x3574, -v68
	v_fma_f16 v5, v5, 0x3574, -v69
	;; [unrolled: 1-line block ×4, first 2 shown]
	v_add_f16_e32 v39, v39, v6
	v_add_f16_e32 v40, v40, v23
	;; [unrolled: 1-line block ×6, first 2 shown]
	v_fmac_f16_e32 v47, 0xb70e, v25
	v_fmac_f16_e32 v48, 0xb70e, v27
	;; [unrolled: 1-line block ×6, first 2 shown]
	v_add_f16_e32 v25, v48, v39
	v_sub_f16_e32 v27, v40, v47
	v_add_f16_e32 v30, v5, v6
	v_sub_f16_e32 v31, v23, v4
	v_sub_f16_e32 v5, v6, v5
	v_add_f16_e32 v4, v4, v23
	v_sub_f16_e32 v6, v39, v48
	v_add_f16_e32 v23, v47, v40
	v_add_f16_e32 v39, v37, v38
	;; [unrolled: 1-line block ×3, first 2 shown]
	v_sub_f16_e32 v37, v37, v38
	v_sub_f16_e32 v0, v0, v29
	v_add_f16_e32 v29, v24, v28
	v_add_f16_e32 v38, v1, v26
	v_sub_f16_e32 v24, v24, v28
	v_sub_f16_e32 v1, v1, v26
	v_add_f16_e32 v26, v32, v41
	v_add_f16_e32 v28, v2, v3
	;; [unrolled: 4-line block ×3, first 2 shown]
	v_sub_f16_e32 v66, v46, v7
	v_add_f16_e32 v67, v42, v65
	v_add_f16_e32 v7, v7, v46
	v_sub_f16_e32 v42, v65, v42
	v_sub_f16_e32 v46, v29, v39
	;; [unrolled: 1-line block ×7, first 2 shown]
	v_add_f16_e32 v48, v32, v24
	v_add_f16_e32 v65, v2, v1
	v_sub_f16_e32 v68, v32, v24
	v_sub_f16_e32 v69, v2, v1
	;; [unrolled: 1-line block ×3, first 2 shown]
	v_add_f16_e32 v3, v26, v3
	v_add_f16_e32 v26, v28, v41
	v_sub_f16_e32 v1, v1, v0
	v_sub_f16_e32 v32, v37, v32
	;; [unrolled: 1-line block ×3, first 2 shown]
	v_add_f16_e32 v28, v48, v37
	v_add_f16_e32 v0, v65, v0
	;; [unrolled: 1-line block ×3, first 2 shown]
	v_add_f16_sdwa v41, v44, v26 dst_sel:DWORD dst_unused:UNUSED_PAD src0_sel:WORD_1 src1_sel:DWORD
	v_mul_f16_e32 v39, 0x3a52, v39
	v_mul_f16_e32 v40, 0x3a52, v40
	v_mul_f16_e32 v44, 0x2b26, v29
	v_mul_f16_e32 v48, 0x2b26, v38
	v_mul_f16_e32 v65, 0x3846, v68
	v_mul_f16_e32 v68, 0x3846, v69
	v_mul_f16_e32 v69, 0xbb00, v24
	v_mul_f16_e32 v70, 0xbb00, v1
	v_fmamk_f16 v3, v3, 0xbcab, v37
	v_fmamk_f16 v26, v26, 0xbcab, v41
	;; [unrolled: 1-line block ×4, first 2 shown]
	v_fma_f16 v44, v46, 0x39e0, -v44
	v_fma_f16 v48, v47, 0x39e0, -v48
	;; [unrolled: 1-line block ×4, first 2 shown]
	v_fmamk_f16 v46, v32, 0xb574, v65
	v_fmamk_f16 v47, v2, 0xb574, v68
	v_fma_f16 v32, v32, 0x3574, -v69
	v_fma_f16 v2, v2, 0x3574, -v70
	;; [unrolled: 1-line block ×4, first 2 shown]
	v_add_f16_e32 v29, v29, v3
	v_add_f16_e32 v38, v38, v26
	;; [unrolled: 1-line block ×6, first 2 shown]
	v_fmac_f16_e32 v2, 0xb70e, v0
	v_fmac_f16_e32 v32, 0xb70e, v28
	;; [unrolled: 1-line block ×6, first 2 shown]
	v_add_f16_e32 v39, v2, v3
	v_sub_f16_e32 v40, v26, v32
	v_sub_f16_e32 v2, v3, v2
	v_add_f16_e32 v3, v32, v26
	v_pack_b32_f16 v32, v45, v43
	v_pack_b32_f16 v25, v25, v27
	v_add_f16_e32 v0, v47, v29
	v_sub_f16_e32 v28, v38, v46
	v_pack_b32_f16 v27, v30, v31
	v_pack_b32_f16 v30, v66, v67
	v_sub_f16_e32 v65, v44, v1
	v_add_f16_e32 v68, v24, v48
	v_pack_b32_f16 v7, v7, v42
	v_pack_b32_f16 v4, v5, v4
	v_add_f16_e32 v1, v1, v44
	v_sub_f16_e32 v24, v48, v24
	v_sub_f16_e32 v26, v29, v47
	v_add_f16_e32 v29, v46, v38
	ds_write2_b32 v84, v32, v25 offset1:36
	ds_write2_b32 v84, v27, v30 offset0:72 offset1:108
	ds_write2_b32 v84, v7, v4 offset0:144 offset1:180
	v_pack_b32_f16 v4, v6, v23
	v_pack_b32_f16 v5, v37, v41
	;; [unrolled: 1-line block ×8, first 2 shown]
	ds_write_b32 v84, v4 offset:864
	ds_write2_b32 v83, v5, v0 offset1:36
	ds_write2_b32 v83, v6, v7 offset0:72 offset1:108
	ds_write2_b32 v83, v1, v2 offset0:144 offset1:180
	ds_write_b32 v83, v3 offset:864
	s_waitcnt lgkmcnt(0)
	s_barrier
	buffer_gl0_inv
	ds_read2_b32 v[0:1], v20 offset0:124 offset1:250
	ds_read2_b32 v[2:3], v18 offset0:120 offset1:246
	;; [unrolled: 1-line block ×6, first 2 shown]
	ds_read2_b32 v[27:28], v64 offset1:126
	s_waitcnt lgkmcnt(6)
	v_lshrrev_b32_e32 v29, 16, v0
	s_waitcnt lgkmcnt(5)
	v_lshrrev_b32_e32 v30, 16, v2
	;; [unrolled: 2-line block ×5, first 2 shown]
	v_mul_f16_sdwa v44, v12, v29 dst_sel:DWORD dst_unused:UNUSED_PAD src0_sel:WORD_1 src1_sel:DWORD
	v_mul_f16_sdwa v45, v12, v0 dst_sel:DWORD dst_unused:UNUSED_PAD src0_sel:WORD_1 src1_sel:DWORD
	;; [unrolled: 1-line block ×4, first 2 shown]
	s_waitcnt lgkmcnt(1)
	v_lshrrev_b32_e32 v38, 16, v25
	v_lshrrev_b32_e32 v39, 16, v1
	v_fmac_f16_e32 v44, v12, v0
	v_fma_f16 v0, v12, v29, -v45
	v_fmac_f16_e32 v46, v13, v2
	v_fma_f16 v2, v13, v30, -v47
	v_mul_f16_sdwa v12, v14, v31 dst_sel:DWORD dst_unused:UNUSED_PAD src0_sel:WORD_1 src1_sel:DWORD
	v_mul_f16_sdwa v13, v14, v4 dst_sel:DWORD dst_unused:UNUSED_PAD src0_sel:WORD_1 src1_sel:DWORD
	;; [unrolled: 1-line block ×5, first 2 shown]
	v_lshrrev_b32_e32 v40, 16, v3
	v_lshrrev_b32_e32 v41, 16, v5
	;; [unrolled: 1-line block ×3, first 2 shown]
	v_fmac_f16_e32 v12, v14, v4
	v_fma_f16 v4, v14, v31, -v13
	v_fmac_f16_e32 v29, v15, v6
	v_fma_f16 v6, v15, v32, -v30
	v_fmac_f16_e32 v45, v35, v23
	v_mul_f16_sdwa v13, v35, v23 dst_sel:DWORD dst_unused:UNUSED_PAD src0_sel:WORD_1 src1_sel:DWORD
	v_mul_f16_sdwa v14, v36, v38 dst_sel:DWORD dst_unused:UNUSED_PAD src0_sel:WORD_1 src1_sel:DWORD
	v_mul_f16_sdwa v23, v8, v39 dst_sel:DWORD dst_unused:UNUSED_PAD src0_sel:WORD_1 src1_sel:DWORD
	v_mul_f16_sdwa v30, v8, v1 dst_sel:DWORD dst_unused:UNUSED_PAD src0_sel:WORD_1 src1_sel:DWORD
	v_lshrrev_b32_e32 v43, 16, v24
	v_lshrrev_b32_e32 v48, 16, v26
	v_mul_f16_sdwa v15, v36, v25 dst_sel:DWORD dst_unused:UNUSED_PAD src0_sel:WORD_1 src1_sel:DWORD
	v_fmac_f16_e32 v14, v36, v25
	v_fmac_f16_e32 v23, v8, v1
	v_fma_f16 v1, v8, v39, -v30
	v_mul_f16_sdwa v8, v9, v40 dst_sel:DWORD dst_unused:UNUSED_PAD src0_sel:WORD_1 src1_sel:DWORD
	v_mul_f16_sdwa v25, v9, v3 dst_sel:DWORD dst_unused:UNUSED_PAD src0_sel:WORD_1 src1_sel:DWORD
	;; [unrolled: 1-line block ×5, first 2 shown]
	v_fma_f16 v13, v35, v37, -v13
	v_fma_f16 v15, v36, v38, -v15
	v_fmac_f16_e32 v8, v9, v3
	v_fma_f16 v3, v9, v40, -v25
	v_fmac_f16_e32 v30, v10, v5
	;; [unrolled: 2-line block ×3, first 2 shown]
	v_mul_f16_sdwa v7, v11, v7 dst_sel:DWORD dst_unused:UNUSED_PAD src0_sel:WORD_1 src1_sel:DWORD
	v_mul_f16_sdwa v9, v33, v43 dst_sel:DWORD dst_unused:UNUSED_PAD src0_sel:WORD_1 src1_sel:DWORD
	;; [unrolled: 1-line block ×5, first 2 shown]
	v_fma_f16 v7, v11, v42, -v7
	v_fmac_f16_e32 v9, v33, v24
	v_fmac_f16_e32 v25, v34, v26
	v_fma_f16 v11, v34, v48, -v31
	v_add_f16_e32 v24, v44, v14
	v_add_f16_e32 v26, v0, v15
	v_sub_f16_e32 v0, v0, v15
	v_add_f16_e32 v15, v46, v45
	v_add_f16_e32 v31, v2, v13
	v_fma_f16 v10, v33, v43, -v10
	v_sub_f16_e32 v14, v44, v14
	v_sub_f16_e32 v33, v46, v45
	;; [unrolled: 1-line block ×3, first 2 shown]
	v_add_f16_e32 v13, v12, v29
	v_add_f16_e32 v34, v4, v6
	v_sub_f16_e32 v12, v29, v12
	v_sub_f16_e32 v4, v6, v4
	v_add_f16_e32 v6, v15, v24
	v_add_f16_e32 v29, v31, v26
	v_sub_f16_e32 v35, v15, v24
	v_sub_f16_e32 v36, v31, v26
	;; [unrolled: 1-line block ×6, first 2 shown]
	v_add_f16_e32 v37, v12, v33
	v_add_f16_e32 v38, v4, v2
	v_sub_f16_e32 v39, v12, v33
	v_sub_f16_e32 v40, v4, v2
	;; [unrolled: 1-line block ×3, first 2 shown]
	v_add_f16_e32 v6, v13, v6
	v_add_f16_e32 v13, v34, v29
	v_sub_f16_e32 v2, v2, v0
	v_sub_f16_e32 v12, v14, v12
	;; [unrolled: 1-line block ×3, first 2 shown]
	v_add_f16_e32 v14, v37, v14
	v_add_f16_e32 v0, v38, v0
	s_waitcnt lgkmcnt(0)
	v_add_f16_e32 v29, v27, v6
	v_add_f16_sdwa v27, v27, v13 dst_sel:DWORD dst_unused:UNUSED_PAD src0_sel:WORD_1 src1_sel:DWORD
	v_mul_f16_e32 v24, 0x3a52, v24
	v_mul_f16_e32 v26, 0x3a52, v26
	;; [unrolled: 1-line block ×8, first 2 shown]
	v_fmamk_f16 v6, v6, 0xbcab, v29
	v_fmamk_f16 v13, v13, 0xbcab, v27
	;; [unrolled: 1-line block ×4, first 2 shown]
	v_fma_f16 v34, v35, 0x39e0, -v34
	v_fma_f16 v37, v36, 0x39e0, -v37
	;; [unrolled: 1-line block ×4, first 2 shown]
	v_fmamk_f16 v35, v12, 0xb574, v38
	v_fmamk_f16 v36, v4, 0xb574, v39
	v_fma_f16 v12, v12, 0x3574, -v40
	v_fma_f16 v4, v4, 0x3574, -v41
	;; [unrolled: 1-line block ×4, first 2 shown]
	v_add_f16_e32 v15, v15, v6
	v_add_f16_e32 v31, v31, v13
	;; [unrolled: 1-line block ×6, first 2 shown]
	v_fmac_f16_e32 v35, 0xb70e, v14
	v_fmac_f16_e32 v36, 0xb70e, v0
	;; [unrolled: 1-line block ×6, first 2 shown]
	v_add_f16_e32 v0, v36, v15
	v_sub_f16_e32 v14, v31, v35
	v_add_f16_e32 v24, v4, v6
	v_sub_f16_e32 v26, v13, v12
	v_sub_f16_e32 v4, v6, v4
	v_add_f16_e32 v6, v12, v13
	v_sub_f16_e32 v12, v15, v36
	v_add_f16_e32 v13, v35, v31
	v_add_f16_e32 v15, v23, v25
	v_add_f16_e32 v31, v1, v11
	v_sub_f16_e32 v23, v23, v25
	v_sub_f16_e32 v1, v1, v11
	v_add_f16_e32 v11, v8, v9
	v_add_f16_e32 v25, v3, v10
	v_sub_f16_e32 v8, v8, v9
	v_sub_f16_e32 v3, v3, v10
	v_add_f16_e32 v9, v30, v32
	v_add_f16_e32 v10, v5, v7
	;; [unrolled: 4-line block ×3, first 2 shown]
	v_sub_f16_e32 v38, v34, v2
	v_add_f16_e32 v39, v33, v37
	v_add_f16_e32 v2, v2, v34
	v_sub_f16_e32 v33, v37, v33
	v_sub_f16_e32 v34, v11, v15
	;; [unrolled: 1-line block ×7, first 2 shown]
	v_add_f16_e32 v36, v30, v8
	v_add_f16_e32 v37, v5, v3
	v_sub_f16_e32 v40, v30, v8
	v_sub_f16_e32 v41, v5, v3
	;; [unrolled: 1-line block ×3, first 2 shown]
	v_add_f16_e32 v7, v9, v7
	v_add_f16_e32 v9, v10, v32
	v_sub_f16_e32 v3, v3, v1
	v_sub_f16_e32 v30, v23, v30
	;; [unrolled: 1-line block ×3, first 2 shown]
	v_add_f16_e32 v10, v36, v23
	v_add_f16_e32 v1, v37, v1
	;; [unrolled: 1-line block ×3, first 2 shown]
	v_add_f16_sdwa v28, v28, v9 dst_sel:DWORD dst_unused:UNUSED_PAD src0_sel:WORD_1 src1_sel:DWORD
	v_mul_f16_e32 v15, 0x3a52, v15
	v_mul_f16_e32 v31, 0x3a52, v31
	;; [unrolled: 1-line block ×8, first 2 shown]
	v_fmamk_f16 v7, v7, 0xbcab, v23
	v_fmamk_f16 v9, v9, 0xbcab, v28
	;; [unrolled: 1-line block ×4, first 2 shown]
	v_fma_f16 v32, v34, 0x39e0, -v32
	v_fma_f16 v36, v35, 0x39e0, -v36
	;; [unrolled: 1-line block ×4, first 2 shown]
	v_fmamk_f16 v34, v30, 0xb574, v37
	v_fmamk_f16 v35, v5, 0xb574, v40
	v_fma_f16 v30, v30, 0x3574, -v41
	v_fma_f16 v5, v5, 0x3574, -v42
	;; [unrolled: 1-line block ×4, first 2 shown]
	v_add_f16_e32 v11, v11, v7
	v_add_f16_e32 v25, v25, v9
	;; [unrolled: 1-line block ×6, first 2 shown]
	v_fmac_f16_e32 v35, 0xb70e, v1
	v_fmac_f16_e32 v5, 0xb70e, v1
	;; [unrolled: 1-line block ×4, first 2 shown]
	v_pack_b32_f16 v0, v0, v14
	v_fmac_f16_e32 v8, 0xb70e, v10
	v_fmac_f16_e32 v3, 0xb70e, v1
	v_add_f16_e32 v1, v35, v11
	v_add_f16_e32 v15, v5, v7
	v_sub_f16_e32 v31, v9, v30
	v_sub_f16_e32 v5, v7, v5
	v_add_f16_e32 v7, v30, v9
	v_sub_f16_e32 v9, v11, v35
	v_pack_b32_f16 v11, v24, v26
	v_pack_b32_f16 v14, v38, v39
	v_sub_f16_e32 v10, v25, v34
	ds_write_b32 v64, v0 offset:1008
	ds_write_b32 v64, v11 offset:2016
	;; [unrolled: 1-line block ×3, first 2 shown]
	v_pack_b32_f16 v0, v2, v33
	v_sub_f16_e32 v37, v32, v3
	v_add_f16_e32 v40, v8, v36
	v_pack_b32_f16 v2, v4, v6
	v_add_f16_e32 v3, v3, v32
	v_sub_f16_e32 v8, v36, v8
	v_pack_b32_f16 v4, v12, v13
	v_add_f16_e32 v24, v34, v25
	v_pack_b32_f16 v25, v29, v27
	v_pack_b32_f16 v6, v23, v28
	;; [unrolled: 1-line block ×3, first 2 shown]
	ds_write_b32 v64, v0 offset:4032
	ds_write_b32 v64, v2 offset:5040
	;; [unrolled: 1-line block ×3, first 2 shown]
	ds_write2_b32 v64, v25, v6 offset1:126
	ds_write_b32 v64, v1 offset:1512
	v_pack_b32_f16 v0, v15, v31
	v_pack_b32_f16 v1, v37, v40
	;; [unrolled: 1-line block ×5, first 2 shown]
	ds_write_b32 v64, v0 offset:2520
	ds_write_b32 v64, v1 offset:3528
	;; [unrolled: 1-line block ×5, first 2 shown]
	s_waitcnt lgkmcnt(0)
	s_barrier
	buffer_gl0_inv
	ds_read2_b32 v[1:2], v64 offset1:126
	s_waitcnt lgkmcnt(0)
	v_lshrrev_b32_e32 v0, 16, v1
	v_mul_f16_sdwa v3, v63, v0 dst_sel:DWORD dst_unused:UNUSED_PAD src0_sel:WORD_1 src1_sel:DWORD
	v_fmac_f16_e32 v3, v63, v1
	v_mul_f16_sdwa v1, v63, v1 dst_sel:DWORD dst_unused:UNUSED_PAD src0_sel:WORD_1 src1_sel:DWORD
	v_cvt_f32_f16_e32 v3, v3
	v_fma_f16 v0, v63, v0, -v1
	v_cvt_f64_f32_e32 v[3:4], v3
	v_cvt_f32_f16_e32 v0, v0
	v_cvt_f64_f32_e32 v[0:1], v0
	v_mul_f64 v[3:4], v[3:4], s[4:5]
	v_mul_f64 v[5:6], v[0:1], s[4:5]
	ds_read2_b32 v[0:1], v22 offset0:116 offset1:242
	v_and_or_b32 v3, 0x1ff, v4, v3
	v_lshrrev_b32_e32 v7, 8, v4
	v_bfe_u32 v8, v4, 20, 11
	v_cmp_ne_u32_e32 vcc_lo, 0, v3
	v_and_or_b32 v5, 0x1ff, v6, v5
	s_waitcnt lgkmcnt(0)
	v_lshrrev_b32_e32 v12, 16, v1
	v_lshrrev_b32_e32 v10, 8, v6
	v_bfe_u32 v14, v6, 20, 11
	v_cndmask_b32_e64 v3, 0, 1, vcc_lo
	v_cmp_ne_u32_e32 vcc_lo, 0, v5
	v_mul_f16_sdwa v13, v62, v12 dst_sel:DWORD dst_unused:UNUSED_PAD src0_sel:WORD_1 src1_sel:DWORD
	v_add_nc_u32_e32 v15, 0xfffffc10, v8
	v_lshrrev_b32_e32 v6, 16, v6
	v_and_or_b32 v11, 0xffe, v7, v3
	v_sub_nc_u32_e32 v3, 0x3f1, v8
	v_cndmask_b32_e64 v5, 0, 1, vcc_lo
	v_fmac_f16_e32 v13, v62, v1
	v_mul_f16_sdwa v1, v62, v1 dst_sel:DWORD dst_unused:UNUSED_PAD src0_sel:WORD_1 src1_sel:DWORD
	v_or_b32_e32 v7, 0x1000, v11
	v_med3_i32 v3, v3, 0, 13
	v_and_or_b32 v5, 0xffe, v10, v5
	v_sub_nc_u32_e32 v10, 0x3f1, v14
	v_lshl_or_b32 v23, v15, 12, v11
	v_fma_f16 v1, v62, v12, -v1
	v_lshrrev_b32_e32 v9, v3, v7
	v_cmp_eq_u32_e64 s1, 0x40f, v15
	v_med3_i32 v22, v10, 0, 13
	v_cvt_f32_f16_e32 v1, v1
	v_lshlrev_b32_e32 v3, v3, v9
	v_cmp_ne_u32_e32 vcc_lo, v3, v7
	v_cvt_f32_f16_e32 v7, v13
	v_or_b32_e32 v13, 0x1000, v5
	v_cndmask_b32_e64 v3, 0, 1, vcc_lo
	v_cvt_f64_f32_e32 v[7:8], v7
	v_lshrrev_b32_e32 v24, v22, v13
	v_cmp_gt_i32_e32 vcc_lo, 1, v15
	v_or_b32_e32 v3, v9, v3
	v_mad_u64_u32 v[9:10], null, s10, v16, 0
	v_lshlrev_b32_e32 v22, v22, v24
	v_cndmask_b32_e32 v23, v23, v3, vcc_lo
	v_cmp_ne_u32_e32 vcc_lo, v22, v13
	v_mov_b32_e32 v3, v10
	v_and_b32_e32 v25, 7, v23
	v_lshrrev_b32_e32 v13, 2, v23
	v_add_nc_u32_e32 v22, 0xfffffc10, v14
	v_cndmask_b32_e64 v10, 0, 1, vcc_lo
	v_cmp_lt_i32_e32 vcc_lo, 5, v25
	v_cmp_eq_u32_e64 s0, 3, v25
	v_lshl_or_b32 v14, v22, 12, v5
	v_mul_f64 v[7:8], v[7:8], s[4:5]
	v_or_b32_e32 v10, v24, v10
	s_or_b32 vcc_lo, s0, vcc_lo
	v_add_co_ci_u32_e32 v13, vcc_lo, 0, v13, vcc_lo
	v_cmp_gt_i32_e32 vcc_lo, 1, v22
	v_cndmask_b32_e32 v14, v14, v10, vcc_lo
	v_cmp_ne_u32_e32 vcc_lo, 0, v11
	v_and_b32_e32 v24, 7, v14
	v_cndmask_b32_e64 v10, 0, 1, vcc_lo
	v_cmp_gt_i32_e32 vcc_lo, 31, v15
	v_lshrrev_b32_e32 v15, 16, v4
	v_cmp_eq_u32_e64 s0, 3, v24
	v_lshl_or_b32 v25, v10, 9, 0x7c00
	v_cndmask_b32_e32 v23, 0x7c00, v13, vcc_lo
	v_cmp_lt_i32_e32 vcc_lo, 5, v24
	v_cvt_f64_f32_e32 v[10:11], v1
	v_mad_u64_u32 v[12:13], null, s11, v16, v[3:4]
	v_lshrrev_b32_e32 v3, 2, v14
	v_and_or_b32 v7, 0x1ff, v8, v7
	s_or_b32 vcc_lo, s0, vcc_lo
	v_bfe_u32 v16, v8, 20, 11
	v_cndmask_b32_e64 v1, v23, v25, s1
	v_add_co_ci_u32_e32 v3, vcc_lo, 0, v3, vcc_lo
	v_cmp_ne_u32_e32 vcc_lo, 0, v7
	v_lshrrev_b32_e32 v7, 8, v8
	v_mad_u64_u32 v[13:14], null, s8, v60, 0
	v_and_or_b32 v15, 0x8000, v15, v1
	v_cndmask_b32_e64 v4, 0, 1, vcc_lo
	v_cmp_ne_u32_e32 vcc_lo, 0, v5
	v_and_or_b32 v24, 0xffe, v7, v4
	v_cndmask_b32_e64 v5, 0, 1, vcc_lo
	v_cmp_gt_i32_e32 vcc_lo, 31, v22
	v_sub_nc_u32_e32 v7, 0x3f1, v16
	v_mov_b32_e32 v1, v14
	v_lshl_or_b32 v5, v5, 9, 0x7c00
	v_cndmask_b32_e32 v23, 0x7c00, v3, vcc_lo
	v_mul_f64 v[3:4], v[10:11], s[4:5]
	v_or_b32_e32 v11, 0x1000, v24
	v_med3_i32 v7, v7, 0, 13
	v_cmp_eq_u32_e32 vcc_lo, 0x40f, v22
	v_mov_b32_e32 v10, v12
	v_lshrrev_b32_e32 v12, v7, v11
	v_cndmask_b32_e32 v5, v23, v5, vcc_lo
	v_lshrrev_b32_e32 v23, 16, v2
	v_lshlrev_b64 v[9:10], 2, v[9:10]
	v_lshlrev_b32_e32 v7, v7, v12
	v_and_or_b32 v22, 0x8000, v6, v5
	v_mad_u64_u32 v[5:6], null, s9, v60, v[1:2]
	v_mul_f16_sdwa v6, v61, v23 dst_sel:DWORD dst_unused:UNUSED_PAD src0_sel:WORD_1 src1_sel:DWORD
	v_cmp_ne_u32_e32 vcc_lo, v7, v11
	v_add_nc_u32_e32 v11, 0xfffffc10, v16
	v_and_b32_e32 v1, 0xffff, v15
	v_fmac_f16_e32 v6, v61, v2
	v_and_or_b32 v3, 0x1ff, v4, v3
	v_cndmask_b32_e64 v7, 0, 1, vcc_lo
	v_lshrrev_b32_e32 v14, 8, v4
	v_bfe_u32 v15, v4, 20, 11
	v_cvt_f32_f16_e32 v6, v6
	v_cmp_ne_u32_e32 vcc_lo, 0, v3
	v_or_b32_e32 v7, v12, v7
	v_lshl_or_b32 v12, v11, 12, v24
	v_mul_f16_sdwa v2, v61, v2 dst_sel:DWORD dst_unused:UNUSED_PAD src0_sel:WORD_1 src1_sel:DWORD
	v_lshl_or_b32 v22, v22, 16, v1
	v_cndmask_b32_e64 v3, 0, 1, vcc_lo
	v_cmp_gt_i32_e32 vcc_lo, 1, v11
	v_lshrrev_b32_e32 v4, 16, v4
	v_fma_f16 v2, v61, v23, -v2
	v_and_or_b32 v3, 0xffe, v14, v3
	v_cndmask_b32_e32 v12, v12, v7, vcc_lo
	v_cvt_f64_f32_e32 v[6:7], v6
	v_sub_nc_u32_e32 v14, 0x3f1, v15
	v_add_co_u32 v27, vcc_lo, s2, v9
	v_or_b32_e32 v16, 0x1000, v3
	v_and_b32_e32 v1, 7, v12
	v_med3_i32 v25, v14, 0, 13
	v_add_co_ci_u32_e32 v28, vcc_lo, s3, v10, vcc_lo
	v_mov_b32_e32 v14, v5
	v_cmp_lt_i32_e32 vcc_lo, 5, v1
	v_lshrrev_b32_e32 v26, v25, v16
	v_cmp_eq_u32_e64 s0, 3, v1
	v_lshrrev_b32_e32 v9, 2, v12
	v_cvt_f32_f16_e32 v10, v2
	v_add_nc_u32_e32 v15, 0xfffffc10, v15
	v_lshlrev_b32_e32 v5, v25, v26
	s_or_b32 vcc_lo, s0, vcc_lo
	s_mul_hi_u32 s2, s8, 0xdc8
	s_mul_i32 s3, s8, 0xdc8
	v_cmp_ne_u32_e64 s1, v5, v16
	v_mul_f64 v[1:2], v[6:7], s[4:5]
	v_cvt_f64_f32_e32 v[5:6], v10
	v_add_co_ci_u32_e32 v7, vcc_lo, 0, v9, vcc_lo
	v_cmp_ne_u32_e32 vcc_lo, 0, v24
	v_cndmask_b32_e64 v12, 0, 1, s1
	v_cndmask_b32_e64 v9, 0, 1, vcc_lo
	v_cmp_gt_i32_e32 vcc_lo, 31, v11
	v_or_b32_e32 v10, v26, v12
	v_lshl_or_b32 v12, v15, 12, v3
	v_lshl_or_b32 v16, v9, 9, 0x7c00
	v_cndmask_b32_e32 v7, 0x7c00, v7, vcc_lo
	v_cmp_gt_i32_e32 vcc_lo, 1, v15
	v_cndmask_b32_e32 v12, v12, v10, vcc_lo
	v_lshlrev_b64 v[9:10], 2, v[13:14]
	v_cmp_eq_u32_e32 vcc_lo, 0x40f, v11
	v_mul_f64 v[5:6], v[5:6], s[4:5]
	v_and_or_b32 v1, 0x1ff, v2, v1
	v_and_b32_e32 v14, 7, v12
	v_lshrrev_b32_e32 v13, 16, v8
	v_cndmask_b32_e32 v11, v7, v16, vcc_lo
	v_add_co_u32 v7, vcc_lo, v27, v9
	v_add_co_ci_u32_e32 v8, vcc_lo, v28, v10, vcc_lo
	v_cmp_lt_i32_e32 vcc_lo, 5, v14
	v_cmp_eq_u32_e64 s0, 3, v14
	ds_read2_b32 v[9:10], v21 offset0:112 offset1:238
	v_lshrrev_b32_e32 v12, 2, v12
	v_cmp_ne_u32_e64 s1, 0, v1
	v_and_or_b32 v11, 0x8000, v13, v11
	s_or_b32 vcc_lo, s0, vcc_lo
	v_lshrrev_b32_e32 v13, 8, v2
	v_add_co_ci_u32_e32 v12, vcc_lo, 0, v12, vcc_lo
	v_cndmask_b32_e64 v1, 0, 1, s1
	v_bfe_u32 v14, v2, 20, 11
	v_cmp_ne_u32_e32 vcc_lo, 0, v3
	v_and_or_b32 v5, 0x1ff, v6, v5
	v_lshrrev_b32_e32 v23, 8, v6
	v_and_or_b32 v1, 0xffe, v13, v1
	v_sub_nc_u32_e32 v13, 0x3f1, v14
	v_cndmask_b32_e64 v3, 0, 1, vcc_lo
	v_cmp_gt_i32_e32 vcc_lo, 31, v15
	v_bfe_u32 v24, v6, 20, 11
	v_or_b32_e32 v16, 0x1000, v1
	v_med3_i32 v13, v13, 0, 13
	v_lshl_or_b32 v3, v3, 9, 0x7c00
	v_cndmask_b32_e32 v12, 0x7c00, v12, vcc_lo
	v_cmp_eq_u32_e32 vcc_lo, 0x40f, v15
	s_waitcnt lgkmcnt(0)
	v_lshrrev_b32_e32 v21, 16, v9
	v_add_nc_u32_e32 v14, 0xfffffc10, v14
	v_and_b32_e32 v11, 0xffff, v11
	global_store_dword v[7:8], v22, off
	v_cndmask_b32_e32 v3, v12, v3, vcc_lo
	v_lshrrev_b32_e32 v12, v13, v16
	v_cmp_ne_u32_e32 vcc_lo, 0, v5
	v_mul_f16_sdwa v15, v59, v21 dst_sel:DWORD dst_unused:UNUSED_PAD src0_sel:WORD_1 src1_sel:DWORD
	s_mul_i32 s0, s9, 0xdc8
	v_and_or_b32 v25, 0x8000, v4, v3
	v_lshlrev_b32_e32 v13, v13, v12
	v_cndmask_b32_e64 v5, 0, 1, vcc_lo
	v_fmac_f16_e32 v15, v59, v9
	v_mul_f16_sdwa v9, v59, v9 dst_sel:DWORD dst_unused:UNUSED_PAD src0_sel:WORD_1 src1_sel:DWORD
	v_lshl_or_b32 v22, v25, 16, v11
	v_cmp_ne_u32_e32 vcc_lo, v13, v16
	v_and_or_b32 v5, 0xffe, v23, v5
	v_sub_nc_u32_e32 v23, 0x3f1, v24
	v_cvt_f32_f16_e32 v15, v15
	v_fma_f16 v9, v59, v21, -v9
	v_cndmask_b32_e64 v13, 0, 1, vcc_lo
	v_or_b32_e32 v16, 0x1000, v5
	v_med3_i32 v23, v23, 0, 13
	v_cvt_f64_f32_e32 v[3:4], v15
	v_cmp_gt_i32_e32 vcc_lo, 1, v14
	v_or_b32_e32 v12, v12, v13
	v_lshl_or_b32 v13, v14, 12, v1
	v_lshrrev_b32_e32 v15, v23, v16
	s_add_i32 s2, s2, s0
	v_cvt_f32_f16_e32 v9, v9
	v_lshrrev_b32_e32 v21, 16, v2
	v_cndmask_b32_e32 v12, v13, v12, vcc_lo
	v_lshlrev_b32_e32 v13, v23, v15
	v_and_b32_e32 v11, 7, v12
	v_cmp_ne_u32_e32 vcc_lo, v13, v16
	v_add_nc_u32_e32 v16, 0xfffffc10, v24
	v_cmp_eq_u32_e64 s0, 3, v11
	v_cndmask_b32_e64 v13, 0, 1, vcc_lo
	v_cmp_lt_i32_e32 vcc_lo, 5, v11
	v_lshrrev_b32_e32 v11, 2, v12
	v_cmp_gt_i32_e64 s1, 1, v16
	v_mul_f64 v[3:4], v[3:4], s[4:5]
	v_or_b32_e32 v13, v15, v13
	v_lshl_or_b32 v15, v16, 12, v5
	s_or_b32 vcc_lo, s0, vcc_lo
	v_cndmask_b32_e64 v13, v15, v13, s1
	v_add_co_ci_u32_e32 v15, vcc_lo, 0, v11, vcc_lo
	v_cvt_f64_f32_e32 v[11:12], v9
	v_cmp_ne_u32_e32 vcc_lo, 0, v1
	v_and_b32_e32 v9, 7, v13
	v_cmp_eq_u32_e64 s1, 0x40f, v14
	v_cndmask_b32_e64 v1, 0, 1, vcc_lo
	v_cmp_gt_i32_e32 vcc_lo, 31, v14
	v_cmp_eq_u32_e64 s0, 3, v9
	v_lshl_or_b32 v1, v1, 9, 0x7c00
	v_cndmask_b32_e32 v15, 0x7c00, v15, vcc_lo
	v_cmp_lt_i32_e32 vcc_lo, 5, v9
	v_lshrrev_b32_e32 v9, 2, v13
	ds_read2_b32 v[13:14], v20 offset0:124 offset1:250
	v_bfe_u32 v20, v4, 20, 11
	v_cndmask_b32_e64 v15, v15, v1, s1
	s_or_b32 vcc_lo, s0, vcc_lo
	v_and_or_b32 v1, 0x1ff, v4, v3
	v_add_co_ci_u32_e32 v3, vcc_lo, 0, v9, vcc_lo
	v_cmp_ne_u32_e32 vcc_lo, 0, v5
	v_mul_f64 v[11:12], v[11:12], s[4:5]
	v_lshrrev_b32_e32 v9, 8, v4
	s_mul_hi_u32 s0, s8, 0xfffff430
	s_mul_i32 s1, s9, 0xfffff430
	v_cndmask_b32_e64 v5, 0, 1, vcc_lo
	v_cmp_ne_u32_e32 vcc_lo, 0, v1
	s_sub_i32 s6, s0, s8
	s_add_i32 s6, s6, s1
	v_lshl_or_b32 v5, v5, 9, 0x7c00
	v_cndmask_b32_e64 v1, 0, 1, vcc_lo
	v_cmp_gt_i32_e32 vcc_lo, 31, v16
	v_and_or_b32 v9, 0xffe, v9, v1
	v_cndmask_b32_e32 v3, 0x7c00, v3, vcc_lo
	v_sub_nc_u32_e32 v1, 0x3f1, v20
	v_cmp_eq_u32_e32 vcc_lo, 0x40f, v16
	v_med3_i32 v16, v1, 0, 13
	v_cndmask_b32_e32 v3, v3, v5, vcc_lo
	v_lshrrev_b32_e32 v5, 16, v6
	v_or_b32_e32 v6, 0x1000, v9
	v_add_co_u32 v1, vcc_lo, v7, s3
	v_add_co_ci_u32_e32 v2, vcc_lo, s2, v8, vcc_lo
	v_and_or_b32 v3, 0x8000, v5, v3
	v_lshrrev_b32_e32 v5, v16, v6
	v_and_or_b32 v8, 0x1ff, v12, v11
	v_and_or_b32 v7, 0x8000, v21, v15
	s_waitcnt lgkmcnt(0)
	v_lshrrev_b32_e32 v15, 16, v13
	v_lshrrev_b32_e32 v21, 8, v12
	v_lshlrev_b32_e32 v11, v16, v5
	v_cmp_ne_u32_e32 vcc_lo, 0, v8
	v_bfe_u32 v23, v12, 20, 11
	v_mul_f16_sdwa v16, v58, v15 dst_sel:DWORD dst_unused:UNUSED_PAD src0_sel:WORD_1 src1_sel:DWORD
	v_and_b32_e32 v7, 0xffff, v7
	v_lshrrev_b32_e32 v12, 16, v12
	v_cndmask_b32_e64 v8, 0, 1, vcc_lo
	v_cmp_ne_u32_e32 vcc_lo, v11, v6
	v_fmac_f16_e32 v16, v58, v13
	v_add_nc_u32_e32 v11, 0xfffffc10, v20
	v_mul_f16_sdwa v13, v58, v13 dst_sel:DWORD dst_unused:UNUSED_PAD src0_sel:WORD_1 src1_sel:DWORD
	v_and_or_b32 v20, 0xffe, v21, v8
	v_cndmask_b32_e64 v6, 0, 1, vcc_lo
	v_sub_nc_u32_e32 v8, 0x3f1, v23
	v_cvt_f32_f16_e32 v16, v16
	v_lshl_or_b32 v24, v11, 12, v9
	v_or_b32_e32 v25, 0x1000, v20
	v_or_b32_e32 v21, v5, v6
	v_med3_i32 v8, v8, 0, 13
	v_cmp_gt_i32_e32 vcc_lo, 1, v11
	v_cvt_f64_f32_e32 v[5:6], v16
	v_fma_f16 v13, v58, v15, -v13
	v_lshl_or_b32 v3, v3, 16, v7
	v_add_nc_u32_e32 v23, 0xfffffc10, v23
	v_cndmask_b32_e32 v16, v24, v21, vcc_lo
	v_lshrrev_b32_e32 v21, v8, v25
	v_add_co_u32 v7, vcc_lo, v1, s7
	v_cvt_f32_f16_e32 v13, v13
	v_and_b32_e32 v24, 7, v16
	v_lshlrev_b32_e32 v26, v8, v21
	v_add_co_ci_u32_e32 v8, vcc_lo, s6, v2, vcc_lo
	global_store_dword v[1:2], v22, off
	global_store_dword v[7:8], v3, off
	v_cmp_ne_u32_e64 s0, v26, v25
	v_cmp_lt_i32_e32 vcc_lo, 5, v24
	v_cndmask_b32_e64 v15, 0, 1, s0
	v_cmp_eq_u32_e64 s0, 3, v24
	v_lshrrev_b32_e32 v24, 2, v16
	v_mul_f64 v[5:6], v[5:6], s[4:5]
	v_or_b32_e32 v21, v21, v15
	s_or_b32 vcc_lo, s0, vcc_lo
	v_cvt_f64_f32_e32 v[15:16], v13
	v_add_co_ci_u32_e32 v24, vcc_lo, 0, v24, vcc_lo
	v_cmp_ne_u32_e32 vcc_lo, 0, v9
	v_lshl_or_b32 v13, v23, 12, v20
	v_cndmask_b32_e64 v9, 0, 1, vcc_lo
	v_cmp_gt_i32_e32 vcc_lo, 1, v23
	v_lshl_or_b32 v9, v9, 9, 0x7c00
	v_cndmask_b32_e32 v13, v13, v21, vcc_lo
	v_cmp_gt_i32_e32 vcc_lo, 31, v11
	v_and_or_b32 v3, 0x1ff, v6, v5
	v_and_b32_e32 v1, 7, v13
	v_cndmask_b32_e32 v21, 0x7c00, v24, vcc_lo
	v_cmp_eq_u32_e32 vcc_lo, 0x40f, v11
	v_lshrrev_b32_e32 v11, 16, v4
	v_cmp_ne_u32_e64 s1, 0, v3
	v_cmp_eq_u32_e64 s0, 3, v1
	v_lshrrev_b32_e32 v4, 2, v13
	v_cndmask_b32_e32 v9, v21, v9, vcc_lo
	v_cmp_lt_i32_e32 vcc_lo, 5, v1
	v_mul_f64 v[1:2], v[15:16], s[4:5]
	v_cndmask_b32_e64 v3, 0, 1, s1
	v_lshrrev_b32_e32 v5, 8, v6
	v_bfe_u32 v13, v6, 20, 11
	s_or_b32 vcc_lo, s0, vcc_lo
	v_lshrrev_b32_e32 v15, 16, v10
	v_add_co_ci_u32_e32 v4, vcc_lo, 0, v4, vcc_lo
	v_and_or_b32 v5, 0xffe, v5, v3
	v_sub_nc_u32_e32 v3, 0x3f1, v13
	v_cmp_ne_u32_e32 vcc_lo, 0, v20
	v_mul_f16_sdwa v16, v57, v15 dst_sel:DWORD dst_unused:UNUSED_PAD src0_sel:WORD_1 src1_sel:DWORD
	v_add_nc_u32_e32 v13, 0xfffffc10, v13
	v_or_b32_e32 v21, 0x1000, v5
	v_med3_i32 v3, v3, 0, 13
	v_cndmask_b32_e64 v20, 0, 1, vcc_lo
	v_cmp_gt_i32_e32 vcc_lo, 31, v23
	v_fmac_f16_e32 v16, v57, v10
	v_mul_f16_sdwa v10, v57, v10 dst_sel:DWORD dst_unused:UNUSED_PAD src0_sel:WORD_1 src1_sel:DWORD
	v_lshrrev_b32_e32 v22, v3, v21
	v_lshl_or_b32 v20, v20, 9, 0x7c00
	v_cndmask_b32_e32 v4, 0x7c00, v4, vcc_lo
	v_and_or_b32 v1, 0x1ff, v2, v1
	v_cmp_eq_u32_e32 vcc_lo, 0x40f, v23
	v_lshlrev_b32_e32 v23, v3, v22
	v_cvt_f32_f16_e32 v16, v16
	v_bfe_u32 v24, v2, 20, 11
	v_fma_f16 v10, v57, v15, -v10
	v_cndmask_b32_e32 v20, v4, v20, vcc_lo
	v_cmp_ne_u32_e32 vcc_lo, 0, v1
	v_cvt_f64_f32_e32 v[3:4], v16
	v_lshrrev_b32_e32 v16, 8, v2
	v_and_or_b32 v9, 0x8000, v11, v9
	v_and_or_b32 v11, 0x8000, v12, v20
	v_cndmask_b32_e64 v1, 0, 1, vcc_lo
	v_cmp_ne_u32_e32 vcc_lo, v23, v21
	v_cvt_f32_f16_e32 v10, v10
	v_and_b32_e32 v20, 0xffff, v9
	v_lshrrev_b32_e32 v2, 16, v2
	v_and_or_b32 v1, 0xffe, v16, v1
	v_cndmask_b32_e64 v21, 0, 1, vcc_lo
	v_cmp_gt_i32_e32 vcc_lo, 1, v13
	v_sub_nc_u32_e32 v16, 0x3f1, v24
	v_cvt_f64_f32_e32 v[9:10], v10
	v_or_b32_e32 v23, 0x1000, v1
	v_or_b32_e32 v21, v22, v21
	v_lshl_or_b32 v22, v13, 12, v5
	v_med3_i32 v16, v16, 0, 13
	v_lshl_or_b32 v20, v11, 16, v20
	v_cndmask_b32_e32 v21, v22, v21, vcc_lo
	v_lshrrev_b32_e32 v12, v16, v23
	v_mul_f64 v[3:4], v[3:4], s[4:5]
	v_and_b32_e32 v15, 7, v21
	v_lshlrev_b32_e32 v16, v16, v12
	v_cmp_lt_i32_e32 vcc_lo, 5, v15
	v_cmp_eq_u32_e64 s0, 3, v15
	v_lshrrev_b32_e32 v15, 2, v21
	v_cmp_ne_u32_e64 s1, v16, v23
	v_add_nc_u32_e32 v21, 0xfffffc10, v24
	s_or_b32 vcc_lo, s0, vcc_lo
	v_add_co_ci_u32_e32 v15, vcc_lo, 0, v15, vcc_lo
	v_cmp_ne_u32_e32 vcc_lo, 0, v5
	v_cndmask_b32_e64 v16, 0, 1, s1
	v_and_or_b32 v3, 0x1ff, v4, v3
	v_cndmask_b32_e64 v5, 0, 1, vcc_lo
	v_cmp_gt_i32_e32 vcc_lo, 31, v13
	v_or_b32_e32 v12, v12, v16
	v_lshl_or_b32 v16, v21, 12, v1
	v_bfe_u32 v22, v4, 20, 11
	v_lshl_or_b32 v5, v5, 9, 0x7c00
	v_cndmask_b32_e32 v15, 0x7c00, v15, vcc_lo
	v_cmp_gt_i32_e32 vcc_lo, 1, v21
	v_cndmask_b32_e32 v12, v16, v12, vcc_lo
	v_cmp_eq_u32_e32 vcc_lo, 0x40f, v13
	v_and_b32_e32 v16, 7, v12
	v_cndmask_b32_e32 v13, v15, v5, vcc_lo
	v_lshrrev_b32_e32 v15, 16, v6
	v_mul_f64 v[5:6], v[9:10], s[4:5]
	v_cmp_ne_u32_e32 vcc_lo, 0, v3
	v_lshrrev_b32_e32 v9, 8, v4
	v_cmp_eq_u32_e64 s0, 3, v16
	v_lshrrev_b32_e32 v10, 2, v12
	v_lshrrev_b32_e32 v12, 16, v14
	v_cndmask_b32_e64 v3, 0, 1, vcc_lo
	v_cmp_lt_i32_e32 vcc_lo, 5, v16
	v_and_or_b32 v13, 0x8000, v15, v13
	v_mul_f16_sdwa v23, v56, v12 dst_sel:DWORD dst_unused:UNUSED_PAD src0_sel:WORD_1 src1_sel:DWORD
	v_and_or_b32 v3, 0xffe, v9, v3
	v_sub_nc_u32_e32 v9, 0x3f1, v22
	s_or_b32 vcc_lo, s0, vcc_lo
	v_add_nc_u32_e32 v22, 0xfffffc10, v22
	v_add_co_ci_u32_e32 v10, vcc_lo, 0, v10, vcc_lo
	v_or_b32_e32 v16, 0x1000, v3
	v_med3_i32 v9, v9, 0, 13
	v_cmp_gt_i32_e32 vcc_lo, 31, v21
	v_fmac_f16_e32 v23, v56, v14
	v_and_b32_e32 v13, 0xffff, v13
	v_and_or_b32 v5, 0x1ff, v6, v5
	v_lshrrev_b32_e32 v24, v9, v16
	v_cndmask_b32_e32 v15, 0x7c00, v10, vcc_lo
	v_cmp_ne_u32_e32 vcc_lo, 0, v1
	v_bfe_u32 v26, v6, 20, 11
	v_lshlrev_b32_e32 v25, v9, v24
	v_cvt_f32_f16_e32 v9, v23
	v_cndmask_b32_e64 v1, 0, 1, vcc_lo
	v_cmp_ne_u32_e32 vcc_lo, 0, v5
	v_lshrrev_b32_e32 v23, 8, v6
	v_lshrrev_b32_e32 v6, 16, v6
	v_cvt_f64_f32_e32 v[9:10], v9
	v_lshl_or_b32 v1, v1, 9, 0x7c00
	v_cndmask_b32_e64 v5, 0, 1, vcc_lo
	v_cmp_ne_u32_e32 vcc_lo, v25, v16
	v_and_or_b32 v5, 0xffe, v23, v5
	v_cndmask_b32_e64 v16, 0, 1, vcc_lo
	v_sub_nc_u32_e32 v23, 0x3f1, v26
	v_cmp_eq_u32_e32 vcc_lo, 0x40f, v21
	v_or_b32_e32 v25, 0x1000, v5
	v_or_b32_e32 v16, v24, v16
	v_lshl_or_b32 v24, v22, 12, v3
	v_med3_i32 v23, v23, 0, 13
	v_cndmask_b32_e32 v1, v15, v1, vcc_lo
	v_cmp_gt_i32_e32 vcc_lo, 1, v22
	v_and_or_b32 v11, 0x8000, v2, v1
	v_cndmask_b32_e32 v15, v24, v16, vcc_lo
	v_lshrrev_b32_e32 v16, v23, v25
	v_mul_f64 v[1:2], v[9:10], s[4:5]
	v_add_co_u32 v7, vcc_lo, v7, s3
	v_and_b32_e32 v21, 7, v15
	v_lshlrev_b32_e32 v23, v23, v16
	v_mul_f16_sdwa v9, v56, v14 dst_sel:DWORD dst_unused:UNUSED_PAD src0_sel:WORD_1 src1_sel:DWORD
	v_add_co_ci_u32_e32 v8, vcc_lo, s2, v8, vcc_lo
	v_cmp_lt_i32_e32 vcc_lo, 5, v21
	v_cmp_ne_u32_e64 s0, v23, v25
	v_lshl_or_b32 v24, v11, 16, v13
	v_lshrrev_b32_e32 v11, 2, v15
	v_fma_f16 v9, v56, v12, -v9
	v_add_nc_u32_e32 v23, 0xfffffc10, v26
	v_cndmask_b32_e64 v10, 0, 1, s0
	v_cmp_eq_u32_e64 s0, 3, v21
	v_lshrrev_b32_e32 v21, 16, v4
	v_cvt_f32_f16_e32 v9, v9
	v_lshl_or_b32 v13, v23, 12, v5
	v_or_b32_e32 v12, v16, v10
	s_or_b32 vcc_lo, s0, vcc_lo
	global_store_dword v[7:8], v20, off
	v_add_co_ci_u32_e32 v11, vcc_lo, 0, v11, vcc_lo
	v_cmp_ne_u32_e32 vcc_lo, 0, v3
	v_cvt_f64_f32_e32 v[9:10], v9
	v_and_or_b32 v1, 0x1ff, v2, v1
	v_bfe_u32 v15, v2, 20, 11
	v_cndmask_b32_e64 v3, 0, 1, vcc_lo
	v_cmp_gt_i32_e32 vcc_lo, 1, v23
	v_lshl_or_b32 v3, v3, 9, 0x7c00
	v_cndmask_b32_e32 v13, v13, v12, vcc_lo
	v_cmp_gt_i32_e32 vcc_lo, 31, v22
	v_lshrrev_b32_e32 v12, 8, v2
	v_and_b32_e32 v14, 7, v13
	v_cndmask_b32_e32 v11, 0x7c00, v11, vcc_lo
	v_cmp_ne_u32_e32 vcc_lo, 0, v1
	v_lshrrev_b32_e32 v13, 2, v13
	v_cmp_eq_u32_e64 s0, 3, v14
	v_cndmask_b32_e64 v1, 0, 1, vcc_lo
	v_cmp_eq_u32_e32 vcc_lo, 0x40f, v22
	v_mul_f64 v[9:10], v[9:10], s[4:5]
	v_and_or_b32 v1, 0xffe, v12, v1
	v_cndmask_b32_e32 v16, v11, v3, vcc_lo
	v_sub_nc_u32_e32 v3, 0x3f1, v15
	v_cmp_lt_i32_e32 vcc_lo, 5, v14
	ds_read2_b32 v[11:12], v19 offset0:108 offset1:234
	v_or_b32_e32 v14, 0x1000, v1
	v_and_or_b32 v16, 0x8000, v21, v16
	v_med3_i32 v19, v3, 0, 13
	s_or_b32 vcc_lo, s0, vcc_lo
	v_add_nc_u32_e32 v15, 0xfffffc10, v15
	v_add_co_ci_u32_e32 v13, vcc_lo, 0, v13, vcc_lo
	v_lshrrev_b32_e32 v22, v19, v14
	v_add_co_u32 v3, vcc_lo, v7, s7
	v_add_co_ci_u32_e32 v4, vcc_lo, s6, v8, vcc_lo
	v_lshlrev_b32_e32 v19, v19, v22
	v_cmp_gt_i32_e32 vcc_lo, 31, v23
	v_and_or_b32 v9, 0x1ff, v10, v9
	v_bfe_u32 v26, v10, 20, 11
	v_and_b32_e32 v16, 0xffff, v16
	global_store_dword v[3:4], v24, off
	v_cndmask_b32_e32 v21, 0x7c00, v13, vcc_lo
	v_cmp_ne_u32_e32 vcc_lo, v19, v14
	s_waitcnt lgkmcnt(0)
	v_lshrrev_b32_e32 v25, 16, v11
	v_lshl_or_b32 v19, v15, 12, v1
	v_cndmask_b32_e64 v13, 0, 1, vcc_lo
	v_cmp_ne_u32_e32 vcc_lo, 0, v5
	v_mul_f16_sdwa v14, v55, v25 dst_sel:DWORD dst_unused:UNUSED_PAD src0_sel:WORD_1 src1_sel:DWORD
	v_or_b32_e32 v13, v22, v13
	v_cndmask_b32_e64 v5, 0, 1, vcc_lo
	v_cmp_ne_u32_e32 vcc_lo, 0, v9
	v_lshrrev_b32_e32 v22, 8, v10
	v_fmac_f16_e32 v14, v55, v11
	v_mul_f16_sdwa v11, v55, v11 dst_sel:DWORD dst_unused:UNUSED_PAD src0_sel:WORD_1 src1_sel:DWORD
	v_lshl_or_b32 v5, v5, 9, 0x7c00
	v_cndmask_b32_e64 v9, 0, 1, vcc_lo
	v_cmp_gt_i32_e32 vcc_lo, 1, v15
	v_cvt_f32_f16_e32 v14, v14
	v_lshrrev_b32_e32 v10, 16, v10
	v_and_or_b32 v9, 0xffe, v22, v9
	v_sub_nc_u32_e32 v22, 0x3f1, v26
	v_cndmask_b32_e32 v19, v19, v13, vcc_lo
	v_cmp_eq_u32_e32 vcc_lo, 0x40f, v23
	v_cvt_f64_f32_e32 v[13:14], v14
	v_or_b32_e32 v28, 0x1000, v9
	v_med3_i32 v22, v22, 0, 13
	v_and_b32_e32 v27, 7, v19
	v_cndmask_b32_e32 v5, v21, v5, vcc_lo
	v_lshrrev_b32_e32 v21, v22, v28
	v_cmp_lt_i32_e32 vcc_lo, 5, v27
	v_cmp_eq_u32_e64 s0, 3, v27
	v_and_or_b32 v23, 0x8000, v6, v5
	v_lshrrev_b32_e32 v5, 2, v19
	v_fma_f16 v6, v55, v25, -v11
	v_lshlrev_b32_e32 v11, v22, v21
	s_or_b32 vcc_lo, s0, vcc_lo
	v_add_nc_u32_e32 v25, 0xfffffc10, v26
	v_add_co_ci_u32_e32 v19, vcc_lo, 0, v5, vcc_lo
	v_cmp_ne_u32_e32 vcc_lo, v11, v28
	v_cvt_f32_f16_e32 v22, v6
	v_mul_f64 v[5:6], v[13:14], s[4:5]
	v_cndmask_b32_e64 v11, 0, 1, vcc_lo
	v_cmp_ne_u32_e32 vcc_lo, 0, v1
	v_cvt_f64_f32_e32 v[13:14], v22
	v_or_b32_e32 v11, v21, v11
	v_cndmask_b32_e64 v1, 0, 1, vcc_lo
	v_cmp_gt_i32_e32 vcc_lo, 31, v15
	v_lshl_or_b32 v21, v25, 12, v9
	v_lshl_or_b32 v1, v1, 9, 0x7c00
	v_cndmask_b32_e32 v19, 0x7c00, v19, vcc_lo
	v_cmp_gt_i32_e32 vcc_lo, 1, v25
	v_cndmask_b32_e32 v11, v21, v11, vcc_lo
	v_cmp_eq_u32_e32 vcc_lo, 0x40f, v15
	v_and_or_b32 v5, 0x1ff, v6, v5
	v_and_b32_e32 v7, 7, v11
	v_cndmask_b32_e32 v15, v19, v1, vcc_lo
	v_lshrrev_b32_e32 v19, 16, v2
	ds_read2_b32 v[1:2], v18 offset0:120 offset1:246
	v_lshrrev_b32_e32 v11, 2, v11
	v_cmp_lt_i32_e32 vcc_lo, 5, v7
	v_cmp_eq_u32_e64 s0, 3, v7
	v_mul_f64 v[7:8], v[13:14], s[4:5]
	v_cmp_ne_u32_e64 s1, 0, v5
	v_lshl_or_b32 v18, v23, 16, v16
	v_lshrrev_b32_e32 v13, 8, v6
	s_or_b32 vcc_lo, s0, vcc_lo
	v_bfe_u32 v16, v6, 20, 11
	v_cndmask_b32_e64 v5, 0, 1, s1
	v_add_co_ci_u32_e32 v11, vcc_lo, 0, v11, vcc_lo
	v_cmp_ne_u32_e32 vcc_lo, 0, v9
	v_and_or_b32 v15, 0x8000, v19, v15
	v_and_or_b32 v5, 0xffe, v13, v5
	v_sub_nc_u32_e32 v13, 0x3f1, v16
	v_cndmask_b32_e64 v9, 0, 1, vcc_lo
	v_cmp_gt_i32_e32 vcc_lo, 31, v25
	s_waitcnt lgkmcnt(0)
	v_lshrrev_b32_e32 v19, 16, v1
	v_or_b32_e32 v20, 0x1000, v5
	v_med3_i32 v13, v13, 0, 13
	v_lshl_or_b32 v9, v9, 9, 0x7c00
	v_cndmask_b32_e32 v11, 0x7c00, v11, vcc_lo
	v_mul_f16_sdwa v14, v54, v19 dst_sel:DWORD dst_unused:UNUSED_PAD src0_sel:WORD_1 src1_sel:DWORD
	v_and_or_b32 v7, 0x1ff, v8, v7
	v_cmp_eq_u32_e32 vcc_lo, 0x40f, v25
	v_lshrrev_b32_e32 v21, v13, v20
	v_lshrrev_b32_e32 v22, 8, v8
	v_fmac_f16_e32 v14, v54, v1
	v_bfe_u32 v23, v8, 20, 11
	v_cndmask_b32_e32 v9, v11, v9, vcc_lo
	v_cmp_ne_u32_e32 vcc_lo, 0, v7
	v_lshlrev_b32_e32 v11, v13, v21
	v_cvt_f32_f16_e32 v13, v14
	v_mul_f16_sdwa v1, v54, v1 dst_sel:DWORD dst_unused:UNUSED_PAD src0_sel:WORD_1 src1_sel:DWORD
	v_and_or_b32 v9, 0x8000, v10, v9
	v_cndmask_b32_e64 v7, 0, 1, vcc_lo
	v_cmp_ne_u32_e32 vcc_lo, v11, v20
	v_cvt_f64_f32_e32 v[13:14], v13
	v_add_nc_u32_e32 v20, 0xfffffc10, v16
	v_sub_nc_u32_e32 v16, 0x3f1, v23
	v_and_or_b32 v7, 0xffe, v22, v7
	v_cndmask_b32_e64 v11, 0, 1, vcc_lo
	v_and_b32_e32 v10, 0xffff, v15
	v_cmp_gt_i32_e32 vcc_lo, 1, v20
	v_med3_i32 v16, v16, 0, 13
	v_or_b32_e32 v22, 0x1000, v7
	v_or_b32_e32 v11, v21, v11
	v_lshl_or_b32 v21, v20, 12, v5
	v_fma_f16 v1, v54, v19, -v1
	v_add_nc_u32_e32 v19, 0xfffffc10, v23
	v_lshrrev_b32_e32 v15, v16, v22
	v_cndmask_b32_e32 v11, v21, v11, vcc_lo
	v_add_co_u32 v3, vcc_lo, v3, s3
	v_lshlrev_b32_e32 v16, v16, v15
	v_add_co_ci_u32_e32 v4, vcc_lo, s2, v4, vcc_lo
	v_and_b32_e32 v24, 7, v11
	v_lshl_or_b32 v21, v9, 16, v10
	v_cmp_ne_u32_e64 s0, v16, v22
	v_mul_f64 v[9:10], v[13:14], s[4:5]
	v_add_co_u32 v13, vcc_lo, v3, s7
	v_add_co_ci_u32_e32 v14, vcc_lo, s6, v4, vcc_lo
	v_cmp_lt_i32_e32 vcc_lo, 5, v24
	v_cndmask_b32_e64 v16, 0, 1, s0
	v_cmp_eq_u32_e64 s0, 3, v24
	v_cvt_f32_f16_e32 v1, v1
	v_lshrrev_b32_e32 v11, 2, v11
	v_lshl_or_b32 v23, v19, 12, v7
	v_or_b32_e32 v22, v15, v16
	s_or_b32 vcc_lo, s0, vcc_lo
	v_cvt_f64_f32_e32 v[15:16], v1
	v_add_co_ci_u32_e32 v1, vcc_lo, 0, v11, vcc_lo
	v_cmp_ne_u32_e32 vcc_lo, 0, v5
	global_store_dword v[3:4], v18, off
	global_store_dword v[13:14], v21, off
	v_cndmask_b32_e64 v5, 0, 1, vcc_lo
	v_cmp_gt_i32_e32 vcc_lo, 1, v19
	v_and_or_b32 v9, 0x1ff, v10, v9
	v_bfe_u32 v24, v10, 20, 11
	v_lshl_or_b32 v5, v5, 9, 0x7c00
	v_cndmask_b32_e32 v11, v23, v22, vcc_lo
	v_cmp_gt_i32_e32 vcc_lo, 31, v20
	v_lshrrev_b32_e32 v23, 8, v10
	v_and_b32_e32 v22, 7, v11
	v_cndmask_b32_e32 v1, 0x7c00, v1, vcc_lo
	v_cmp_ne_u32_e32 vcc_lo, 0, v9
	v_lshrrev_b32_e32 v11, 2, v11
	v_cmp_eq_u32_e64 s0, 3, v22
	v_cndmask_b32_e64 v9, 0, 1, vcc_lo
	v_cmp_eq_u32_e32 vcc_lo, 0x40f, v20
	v_lshrrev_b32_e32 v20, 16, v6
	v_and_or_b32 v9, 0xffe, v23, v9
	v_cndmask_b32_e32 v1, v1, v5, vcc_lo
	v_cmp_lt_i32_e32 vcc_lo, 5, v22
	v_mul_f64 v[5:6], v[15:16], s[4:5]
	v_sub_nc_u32_e32 v23, 0x3f1, v24
	v_or_b32_e32 v16, 0x1000, v9
	v_lshrrev_b32_e32 v15, 16, v12
	s_or_b32 vcc_lo, s0, vcc_lo
	v_and_or_b32 v1, 0x8000, v20, v1
	v_add_co_ci_u32_e32 v11, vcc_lo, 0, v11, vcc_lo
	v_med3_i32 v22, v23, 0, 13
	v_cmp_ne_u32_e32 vcc_lo, 0, v7
	v_mul_f16_sdwa v23, v53, v15 dst_sel:DWORD dst_unused:UNUSED_PAD src0_sel:WORD_1 src1_sel:DWORD
	v_and_b32_e32 v1, 0xffff, v1
	v_lshrrev_b32_e32 v25, v22, v16
	v_cndmask_b32_e64 v7, 0, 1, vcc_lo
	v_cmp_gt_i32_e32 vcc_lo, 31, v19
	v_fmac_f16_e32 v23, v53, v12
	v_mul_f16_sdwa v12, v53, v12 dst_sel:DWORD dst_unused:UNUSED_PAD src0_sel:WORD_1 src1_sel:DWORD
	v_lshlrev_b32_e32 v20, v22, v25
	v_lshl_or_b32 v7, v7, 9, 0x7c00
	v_cndmask_b32_e32 v11, 0x7c00, v11, vcc_lo
	v_cmp_eq_u32_e32 vcc_lo, 0x40f, v19
	v_and_or_b32 v5, 0x1ff, v6, v5
	v_cvt_f32_f16_e32 v22, v23
	v_lshrrev_b32_e32 v19, 16, v8
	v_bfe_u32 v23, v6, 20, 11
	v_cndmask_b32_e32 v11, v11, v7, vcc_lo
	v_cmp_ne_u32_e32 vcc_lo, v20, v16
	v_cvt_f64_f32_e32 v[7:8], v22
	v_add_nc_u32_e32 v20, 0xfffffc10, v24
	v_lshrrev_b32_e32 v22, 8, v6
	v_and_or_b32 v11, 0x8000, v19, v11
	v_cndmask_b32_e64 v16, 0, 1, vcc_lo
	v_cmp_ne_u32_e32 vcc_lo, 0, v5
	v_lshl_or_b32 v19, v20, 12, v9
	v_fma_f16 v12, v53, v15, -v12
	v_lshl_or_b32 v1, v11, 16, v1
	v_or_b32_e32 v16, v25, v16
	v_cndmask_b32_e64 v5, 0, 1, vcc_lo
	v_cmp_gt_i32_e32 vcc_lo, 1, v20
	v_and_or_b32 v5, 0xffe, v22, v5
	v_sub_nc_u32_e32 v22, 0x3f1, v23
	v_cndmask_b32_e32 v16, v19, v16, vcc_lo
	v_or_b32_e32 v19, 0x1000, v5
	v_med3_i32 v22, v22, 0, 13
	v_and_b32_e32 v11, 7, v16
	v_mul_f64 v[3:4], v[7:8], s[4:5]
	v_add_co_u32 v7, vcc_lo, v13, s3
	v_lshrrev_b32_e32 v18, v22, v19
	v_add_co_ci_u32_e32 v8, vcc_lo, s2, v14, vcc_lo
	v_cmp_lt_i32_e32 vcc_lo, 5, v11
	v_cmp_eq_u32_e64 s0, 3, v11
	v_lshlrev_b32_e32 v13, v22, v18
	v_lshrrev_b32_e32 v11, 2, v16
	v_add_nc_u32_e32 v14, 0xfffffc10, v23
	global_store_dword v[7:8], v1, off
	s_or_b32 vcc_lo, s0, vcc_lo
	v_cmp_ne_u32_e64 s1, v13, v19
	v_add_co_ci_u32_e32 v15, vcc_lo, 0, v11, vcc_lo
	v_cmp_ne_u32_e32 vcc_lo, 0, v9
	v_cvt_f32_f16_e32 v11, v12
	v_cndmask_b32_e64 v13, 0, 1, s1
	v_lshl_or_b32 v16, v14, 12, v5
	v_cndmask_b32_e64 v9, 0, 1, vcc_lo
	v_cmp_gt_i32_e32 vcc_lo, 1, v14
	v_or_b32_e32 v13, v18, v13
	v_cvt_f64_f32_e32 v[11:12], v11
	v_and_or_b32 v3, 0x1ff, v4, v3
	v_lshl_or_b32 v9, v9, 9, 0x7c00
	v_bfe_u32 v19, v4, 20, 11
	v_cndmask_b32_e32 v13, v16, v13, vcc_lo
	v_cmp_gt_i32_e32 vcc_lo, 31, v20
	v_lshrrev_b32_e32 v18, 8, v4
	v_and_b32_e32 v16, 7, v13
	v_cndmask_b32_e32 v15, 0x7c00, v15, vcc_lo
	v_cmp_ne_u32_e32 vcc_lo, 0, v3
	v_lshrrev_b32_e32 v13, 2, v13
	v_cmp_eq_u32_e64 s0, 3, v16
	v_cndmask_b32_e64 v3, 0, 1, vcc_lo
	v_cmp_eq_u32_e32 vcc_lo, 0x40f, v20
	v_lshrrev_b32_e32 v20, 16, v10
	v_and_or_b32 v3, 0xffe, v18, v3
	v_cndmask_b32_e32 v15, v15, v9, vcc_lo
	v_sub_nc_u32_e32 v9, 0x3f1, v19
	v_cmp_lt_i32_e32 vcc_lo, 5, v16
	v_or_b32_e32 v16, 0x1000, v3
	v_and_or_b32 v15, 0x8000, v20, v15
	v_med3_i32 v18, v9, 0, 13
	v_mul_f64 v[9:10], v[11:12], s[4:5]
	s_or_b32 vcc_lo, s0, vcc_lo
	v_lshrrev_b32_e32 v11, 16, v2
	v_add_co_ci_u32_e32 v12, vcc_lo, 0, v13, vcc_lo
	v_cmp_ne_u32_e32 vcc_lo, 0, v5
	v_lshrrev_b32_e32 v13, v18, v16
	v_mul_f16_sdwa v21, v52, v11 dst_sel:DWORD dst_unused:UNUSED_PAD src0_sel:WORD_1 src1_sel:DWORD
	v_and_b32_e32 v15, 0xffff, v15
	v_cndmask_b32_e64 v5, 0, 1, vcc_lo
	v_cmp_gt_i32_e32 vcc_lo, 31, v14
	v_lshlrev_b32_e32 v18, v18, v13
	v_fmac_f16_e32 v21, v52, v2
	v_mul_f16_sdwa v2, v52, v2 dst_sel:DWORD dst_unused:UNUSED_PAD src0_sel:WORD_1 src1_sel:DWORD
	v_lshl_or_b32 v5, v5, 9, 0x7c00
	v_cndmask_b32_e32 v12, 0x7c00, v12, vcc_lo
	v_cmp_eq_u32_e32 vcc_lo, 0x40f, v14
	v_lshrrev_b32_e32 v14, 16, v6
	v_fma_f16 v2, v52, v11, -v2
	v_cndmask_b32_e32 v12, v12, v5, vcc_lo
	v_cmp_ne_u32_e32 vcc_lo, v18, v16
	v_and_or_b32 v9, 0x1ff, v10, v9
	v_cvt_f32_f16_e32 v5, v21
	v_add_nc_u32_e32 v18, 0xfffffc10, v19
	v_and_or_b32 v12, 0x8000, v14, v12
	v_cndmask_b32_e64 v16, 0, 1, vcc_lo
	v_cmp_ne_u32_e32 vcc_lo, 0, v9
	v_cvt_f64_f32_e32 v[5:6], v5
	v_lshl_or_b32 v14, v18, 12, v3
	v_bfe_u32 v19, v10, 20, 11
	v_or_b32_e32 v13, v13, v16
	v_cndmask_b32_e64 v9, 0, 1, vcc_lo
	v_lshrrev_b32_e32 v16, 8, v10
	v_cmp_gt_i32_e32 vcc_lo, 1, v18
	v_lshl_or_b32 v1, v12, 16, v15
	v_cvt_f32_f16_e32 v11, v2
	v_lshrrev_b32_e32 v10, 16, v10
	v_and_or_b32 v9, 0xffe, v16, v9
	v_cndmask_b32_e32 v13, v14, v13, vcc_lo
	v_sub_nc_u32_e32 v14, 0x3f1, v19
	v_add_co_u32 v7, vcc_lo, v7, s7
	v_or_b32_e32 v15, 0x1000, v9
	v_and_b32_e32 v12, 7, v13
	v_med3_i32 v14, v14, 0, 13
	v_add_co_ci_u32_e32 v8, vcc_lo, s6, v8, vcc_lo
	v_cmp_lt_i32_e32 vcc_lo, 5, v12
	v_lshrrev_b32_e32 v16, v14, v15
	v_cmp_eq_u32_e64 s0, 3, v12
	v_mul_f64 v[5:6], v[5:6], s[4:5]
	global_store_dword v[7:8], v1, off
	v_lshrrev_b32_e32 v1, 2, v13
	v_lshlrev_b32_e32 v12, v14, v16
	s_or_b32 vcc_lo, s0, vcc_lo
	v_add_co_u32 v7, s1, v7, s3
	v_add_co_ci_u32_e32 v13, vcc_lo, 0, v1, vcc_lo
	v_cmp_ne_u32_e32 vcc_lo, v12, v15
	v_add_nc_u32_e32 v15, 0xfffffc10, v19
	ds_read2_b32 v[1:2], v17 offset0:104 offset1:230
	v_cvt_f64_f32_e32 v[11:12], v11
	v_add_co_ci_u32_e64 v8, s1, s2, v8, s1
	v_cndmask_b32_e64 v14, 0, 1, vcc_lo
	v_cmp_ne_u32_e32 vcc_lo, 0, v3
	v_or_b32_e32 v14, v16, v14
	v_cndmask_b32_e64 v3, 0, 1, vcc_lo
	v_cmp_gt_i32_e32 vcc_lo, 31, v18
	v_lshl_or_b32 v16, v15, 12, v9
	v_and_or_b32 v5, 0x1ff, v6, v5
	v_bfe_u32 v17, v6, 20, 11
	v_lshl_or_b32 v3, v3, 9, 0x7c00
	v_cndmask_b32_e32 v13, 0x7c00, v13, vcc_lo
	v_cmp_gt_i32_e32 vcc_lo, 1, v15
	v_sub_nc_u32_e32 v19, 0x3f1, v17
	s_waitcnt lgkmcnt(0)
	v_lshrrev_b32_e32 v20, 16, v1
	v_add_nc_u32_e32 v17, 0xfffffc10, v17
	v_cndmask_b32_e32 v14, v16, v14, vcc_lo
	v_cmp_ne_u32_e32 vcc_lo, 0, v5
	v_lshrrev_b32_e32 v16, 8, v6
	v_lshrrev_b32_e32 v6, 16, v6
	v_cndmask_b32_e64 v5, 0, 1, vcc_lo
	v_cmp_eq_u32_e32 vcc_lo, 0x40f, v18
	v_and_b32_e32 v18, 7, v14
	v_lshrrev_b32_e32 v14, 2, v14
	v_and_or_b32 v5, 0xffe, v16, v5
	v_cndmask_b32_e32 v13, v13, v3, vcc_lo
	v_cmp_lt_i32_e32 vcc_lo, 5, v18
	v_cmp_eq_u32_e64 s0, 3, v18
	v_lshrrev_b32_e32 v16, 16, v4
	v_mul_f64 v[3:4], v[11:12], s[4:5]
	v_or_b32_e32 v21, 0x1000, v5
	v_med3_i32 v11, v19, 0, 13
	v_mul_f16_sdwa v12, v51, v20 dst_sel:DWORD dst_unused:UNUSED_PAD src0_sel:WORD_1 src1_sel:DWORD
	s_or_b32 vcc_lo, s0, vcc_lo
	v_and_or_b32 v13, 0x8000, v16, v13
	v_add_co_ci_u32_e32 v14, vcc_lo, 0, v14, vcc_lo
	v_lshrrev_b32_e32 v16, v11, v21
	v_cmp_ne_u32_e32 vcc_lo, 0, v9
	v_fmac_f16_e32 v12, v51, v1
	v_and_b32_e32 v13, 0xffff, v13
	v_mul_f16_sdwa v1, v51, v1 dst_sel:DWORD dst_unused:UNUSED_PAD src0_sel:WORD_1 src1_sel:DWORD
	v_lshlrev_b32_e32 v18, v11, v16
	v_cndmask_b32_e64 v9, 0, 1, vcc_lo
	v_cmp_gt_i32_e32 vcc_lo, 31, v15
	v_cvt_f32_f16_e32 v12, v12
	v_fma_f16 v1, v51, v20, -v1
	v_lshl_or_b32 v9, v9, 9, 0x7c00
	v_cndmask_b32_e32 v14, 0x7c00, v14, vcc_lo
	v_cmp_ne_u32_e32 vcc_lo, v18, v21
	v_cvt_f64_f32_e32 v[11:12], v12
	v_and_or_b32 v3, 0x1ff, v4, v3
	v_cvt_f32_f16_e32 v1, v1
	v_cndmask_b32_e64 v18, 0, 1, vcc_lo
	v_cmp_eq_u32_e32 vcc_lo, 0x40f, v15
	v_lshl_or_b32 v15, v17, 12, v5
	v_cndmask_b32_e32 v9, v14, v9, vcc_lo
	v_cmp_ne_u32_e32 vcc_lo, 0, v3
	v_or_b32_e32 v14, v16, v18
	v_lshrrev_b32_e32 v16, 8, v4
	v_bfe_u32 v18, v4, 20, 11
	v_cndmask_b32_e64 v3, 0, 1, vcc_lo
	v_cmp_gt_i32_e32 vcc_lo, 1, v17
	v_and_or_b32 v3, 0xffe, v16, v3
	v_sub_nc_u32_e32 v16, 0x3f1, v18
	v_cndmask_b32_e32 v14, v15, v14, vcc_lo
	v_and_or_b32 v15, 0x8000, v10, v9
	v_mul_f64 v[9:10], v[11:12], s[4:5]
	v_or_b32_e32 v21, 0x1000, v3
	v_med3_i32 v11, v16, 0, 13
	v_and_b32_e32 v19, 7, v14
	v_lshl_or_b32 v13, v15, 16, v13
	v_lshrrev_b32_e32 v12, 2, v14
	v_lshrrev_b32_e32 v15, v11, v21
	v_cmp_lt_i32_e32 vcc_lo, 5, v19
	v_cmp_eq_u32_e64 s0, 3, v19
	v_lshlrev_b32_e32 v11, v11, v15
	s_or_b32 vcc_lo, s0, vcc_lo
	v_add_co_ci_u32_e32 v14, vcc_lo, 0, v12, vcc_lo
	v_cmp_ne_u32_e32 vcc_lo, v11, v21
	v_cvt_f64_f32_e32 v[11:12], v1
	v_add_nc_u32_e32 v1, 0xfffffc10, v18
	v_and_or_b32 v9, 0x1ff, v10, v9
	v_cndmask_b32_e64 v16, 0, 1, vcc_lo
	v_cmp_gt_i32_e32 vcc_lo, 31, v17
	v_lshrrev_b32_e32 v18, 8, v10
	v_bfe_u32 v19, v10, 20, 11
	v_lshrrev_b32_e32 v10, 16, v10
	v_or_b32_e32 v15, v15, v16
	v_cndmask_b32_e32 v14, 0x7c00, v14, vcc_lo
	v_cmp_ne_u32_e32 vcc_lo, 0, v9
	v_lshl_or_b32 v16, v1, 12, v3
	v_cndmask_b32_e64 v9, 0, 1, vcc_lo
	v_cmp_ne_u32_e32 vcc_lo, 0, v5
	v_and_or_b32 v9, 0xffe, v18, v9
	v_cndmask_b32_e64 v5, 0, 1, vcc_lo
	v_cmp_gt_i32_e32 vcc_lo, 1, v1
	v_lshrrev_b32_e32 v18, 16, v0
	v_mul_f64 v[11:12], v[11:12], s[4:5]
	v_or_b32_e32 v21, 0x1000, v9
	v_lshl_or_b32 v5, v5, 9, 0x7c00
	v_cndmask_b32_e32 v15, v16, v15, vcc_lo
	v_sub_nc_u32_e32 v16, 0x3f1, v19
	v_cmp_eq_u32_e32 vcc_lo, 0x40f, v17
	v_mul_f16_sdwa v22, v50, v18 dst_sel:DWORD dst_unused:UNUSED_PAD src0_sel:WORD_1 src1_sel:DWORD
	v_add_nc_u32_e32 v19, 0xfffffc10, v19
	v_and_b32_e32 v20, 7, v15
	v_med3_i32 v16, v16, 0, 13
	v_cndmask_b32_e32 v5, v14, v5, vcc_lo
	v_fmac_f16_e32 v22, v50, v0
	v_mul_f16_sdwa v0, v50, v0 dst_sel:DWORD dst_unused:UNUSED_PAD src0_sel:WORD_1 src1_sel:DWORD
	v_cmp_lt_i32_e32 vcc_lo, 5, v20
	v_lshrrev_b32_e32 v14, v16, v21
	v_cmp_eq_u32_e64 s0, 3, v20
	v_and_or_b32 v17, 0x8000, v6, v5
	v_lshrrev_b32_e32 v5, 2, v15
	v_cvt_f32_f16_e32 v15, v22
	v_lshlrev_b32_e32 v6, v16, v14
	s_or_b32 vcc_lo, s0, vcc_lo
	v_fma_f16 v0, v50, v18, -v0
	v_add_co_ci_u32_e32 v16, vcc_lo, 0, v5, vcc_lo
	v_cmp_ne_u32_e32 vcc_lo, v6, v21
	v_cvt_f64_f32_e32 v[5:6], v15
	v_lshl_or_b32 v15, v19, 12, v9
	v_and_or_b32 v11, 0x1ff, v12, v11
	v_cvt_f32_f16_e32 v0, v0
	v_cndmask_b32_e64 v20, 0, 1, vcc_lo
	v_cmp_ne_u32_e32 vcc_lo, 0, v3
	v_or_b32_e32 v14, v14, v20
	v_cndmask_b32_e64 v3, 0, 1, vcc_lo
	v_cmp_gt_i32_e32 vcc_lo, 31, v1
	v_bfe_u32 v20, v12, 20, 11
	v_lshl_or_b32 v3, v3, 9, 0x7c00
	v_cndmask_b32_e32 v16, 0x7c00, v16, vcc_lo
	v_cmp_gt_i32_e32 vcc_lo, 1, v19
	v_cndmask_b32_e32 v14, v15, v14, vcc_lo
	v_cmp_ne_u32_e32 vcc_lo, 0, v11
	v_lshrrev_b32_e32 v15, 8, v12
	v_lshrrev_b32_e32 v12, 16, v12
	v_and_b32_e32 v21, 7, v14
	v_cndmask_b32_e64 v11, 0, 1, vcc_lo
	v_cmp_eq_u32_e32 vcc_lo, 0x40f, v1
	v_lshrrev_b32_e32 v14, 2, v14
	v_cmp_eq_u32_e64 s0, 3, v21
	v_and_or_b32 v11, 0xffe, v15, v11
	v_sub_nc_u32_e32 v15, 0x3f1, v20
	v_cndmask_b32_e32 v1, v16, v3, vcc_lo
	v_cmp_lt_i32_e32 vcc_lo, 5, v21
	v_lshrrev_b32_e32 v16, 16, v4
	v_mul_f64 v[3:4], v[5:6], s[4:5]
	v_or_b32_e32 v5, 0x1000, v11
	v_med3_i32 v6, v15, 0, 13
	s_or_b32 vcc_lo, s0, vcc_lo
	v_and_or_b32 v1, 0x8000, v16, v1
	v_add_co_ci_u32_e32 v14, vcc_lo, 0, v14, vcc_lo
	v_and_b32_e32 v15, 0xffff, v17
	v_lshrrev_b32_e32 v16, v6, v5
	v_cmp_ne_u32_e32 vcc_lo, 0, v9
	v_lshl_or_b32 v15, v1, 16, v15
	v_lshlrev_b32_e32 v1, v6, v16
	v_cndmask_b32_e64 v9, 0, 1, vcc_lo
	v_cmp_gt_i32_e32 vcc_lo, 31, v19
	v_lshl_or_b32 v9, v9, 9, 0x7c00
	v_cndmask_b32_e32 v6, 0x7c00, v14, vcc_lo
	v_cmp_ne_u32_e32 vcc_lo, v1, v5
	v_and_or_b32 v3, 0x1ff, v4, v3
	v_add_nc_u32_e32 v14, 0xfffffc10, v20
	v_bfe_u32 v17, v4, 20, 11
	v_cndmask_b32_e64 v1, 0, 1, vcc_lo
	v_cmp_eq_u32_e32 vcc_lo, 0x40f, v19
	v_lshrrev_b32_e32 v19, 16, v2
	v_or_b32_e32 v5, v16, v1
	v_cndmask_b32_e32 v9, v6, v9, vcc_lo
	v_cmp_ne_u32_e32 vcc_lo, 0, v3
	v_lshrrev_b32_e32 v16, 8, v4
	v_lshl_or_b32 v6, v14, 12, v11
	v_cvt_f64_f32_e32 v[0:1], v0
	v_mul_f16_sdwa v22, v49, v19 dst_sel:DWORD dst_unused:UNUSED_PAD src0_sel:WORD_1 src1_sel:DWORD
	v_cndmask_b32_e64 v3, 0, 1, vcc_lo
	v_cmp_gt_i32_e32 vcc_lo, 1, v14
	v_and_or_b32 v23, 0x8000, v10, v9
	v_lshrrev_b32_e32 v4, 16, v4
	v_fmac_f16_e32 v22, v49, v2
	v_and_or_b32 v16, 0xffe, v16, v3
	v_sub_nc_u32_e32 v3, 0x3f1, v17
	v_cndmask_b32_e32 v18, v6, v5, vcc_lo
	v_add_co_u32 v5, vcc_lo, v7, s7
	v_or_b32_e32 v21, 0x1000, v16
	v_med3_i32 v3, v3, 0, 13
	v_and_b32_e32 v20, 7, v18
	v_add_co_ci_u32_e32 v6, vcc_lo, s6, v8, vcc_lo
	v_lshrrev_b32_e32 v9, 2, v18
	v_lshrrev_b32_e32 v24, v3, v21
	v_cmp_lt_i32_e32 vcc_lo, 5, v20
	v_cmp_eq_u32_e64 s0, 3, v20
	v_cvt_f32_f16_e32 v10, v22
	v_mul_f64 v[0:1], v[0:1], s[4:5]
	v_lshlrev_b32_e32 v3, v3, v24
	v_add_nc_u32_e32 v17, 0xfffffc10, v17
	s_or_b32 vcc_lo, s0, vcc_lo
	v_mul_f16_sdwa v2, v49, v2 dst_sel:DWORD dst_unused:UNUSED_PAD src0_sel:WORD_1 src1_sel:DWORD
	v_add_co_ci_u32_e32 v18, vcc_lo, 0, v9, vcc_lo
	v_cmp_ne_u32_e32 vcc_lo, v3, v21
	v_cvt_f64_f32_e32 v[9:10], v10
	v_lshl_or_b32 v20, v17, 12, v16
	v_fma_f16 v2, v49, v19, -v2
	v_cndmask_b32_e64 v3, 0, 1, vcc_lo
	v_cmp_ne_u32_e32 vcc_lo, 0, v11
	v_cvt_f32_f16_e32 v2, v2
	v_or_b32_e32 v3, v24, v3
	v_cndmask_b32_e64 v11, 0, 1, vcc_lo
	v_cmp_gt_i32_e32 vcc_lo, 31, v14
	v_and_or_b32 v0, 0x1ff, v1, v0
	v_lshl_or_b32 v11, v11, 9, 0x7c00
	v_cndmask_b32_e32 v18, 0x7c00, v18, vcc_lo
	v_cmp_gt_i32_e32 vcc_lo, 1, v17
	v_cndmask_b32_e32 v19, v20, v3, vcc_lo
	v_cmp_eq_u32_e32 vcc_lo, 0x40f, v14
	v_mul_f64 v[9:10], v[9:10], s[4:5]
	v_cvt_f64_f32_e32 v[2:3], v2
	v_bfe_u32 v20, v1, 20, 11
	v_and_b32_e32 v14, 7, v19
	v_cndmask_b32_e32 v11, v18, v11, vcc_lo
	v_cmp_ne_u32_e32 vcc_lo, 0, v0
	v_lshrrev_b32_e32 v18, 8, v1
	v_lshrrev_b32_e32 v1, 16, v1
	v_cmp_eq_u32_e64 s0, 3, v14
	v_and_or_b32 v11, 0x8000, v12, v11
	v_and_b32_e32 v12, 0xffff, v23
	v_cndmask_b32_e64 v0, 0, 1, vcc_lo
	v_cmp_lt_i32_e32 vcc_lo, 5, v14
	v_lshl_or_b32 v11, v11, 16, v12
	v_lshrrev_b32_e32 v12, 2, v19
	v_and_or_b32 v0, 0xffe, v18, v0
	v_sub_nc_u32_e32 v18, 0x3f1, v20
	s_or_b32 vcc_lo, s0, vcc_lo
	v_add_co_ci_u32_e32 v12, vcc_lo, 0, v12, vcc_lo
	v_or_b32_e32 v14, 0x1000, v0
	v_med3_i32 v18, v18, 0, 13
	v_cmp_ne_u32_e32 vcc_lo, 0, v16
	v_and_or_b32 v9, 0x1ff, v10, v9
	v_mul_f64 v[2:3], v[2:3], s[4:5]
	v_lshrrev_b32_e32 v21, 8, v10
	v_lshrrev_b32_e32 v19, v18, v14
	v_cndmask_b32_e64 v16, 0, 1, vcc_lo
	v_cmp_gt_i32_e32 vcc_lo, 31, v17
	v_bfe_u32 v22, v10, 20, 11
	v_lshrrev_b32_e32 v10, 16, v10
	v_lshlrev_b32_e32 v18, v18, v19
	v_lshl_or_b32 v16, v16, 9, 0x7c00
	v_cndmask_b32_e32 v12, 0x7c00, v12, vcc_lo
	v_cmp_ne_u32_e32 vcc_lo, 0, v9
	v_cndmask_b32_e64 v9, 0, 1, vcc_lo
	v_cmp_ne_u32_e32 vcc_lo, v18, v14
	v_add_nc_u32_e32 v18, 0xfffffc10, v20
	v_sub_nc_u32_e32 v20, 0x3f1, v22
	v_and_or_b32 v9, 0xffe, v21, v9
	v_cndmask_b32_e64 v14, 0, 1, vcc_lo
	v_cmp_eq_u32_e32 vcc_lo, 0x40f, v17
	v_and_or_b32 v2, 0x1ff, v3, v2
	v_bfe_u32 v21, v3, 20, 11
	v_or_b32_e32 v17, 0x1000, v9
	v_or_b32_e32 v14, v19, v14
	v_cndmask_b32_e32 v12, v12, v16, vcc_lo
	v_lshl_or_b32 v16, v18, 12, v0
	v_med3_i32 v19, v20, 0, 13
	v_cmp_gt_i32_e32 vcc_lo, 1, v18
	v_lshrrev_b32_e32 v20, 8, v3
	v_and_or_b32 v4, 0x8000, v4, v12
	v_sub_nc_u32_e32 v12, 0x3f1, v21
	v_lshrrev_b32_e32 v3, 16, v3
	v_cndmask_b32_e32 v14, v16, v14, vcc_lo
	v_lshrrev_b32_e32 v16, v19, v17
	v_cmp_ne_u32_e32 vcc_lo, 0, v2
	v_med3_i32 v12, v12, 0, 13
	v_and_b32_e32 v4, 0xffff, v4
	v_and_b32_e32 v23, 7, v14
	v_lshlrev_b32_e32 v19, v19, v16
	v_cndmask_b32_e64 v2, 0, 1, vcc_lo
	v_lshrrev_b32_e32 v14, 2, v14
	v_cmp_lt_i32_e32 vcc_lo, 5, v23
	v_cmp_ne_u32_e64 s0, v19, v17
	v_and_or_b32 v2, 0xffe, v20, v2
	v_add_nc_u32_e32 v20, 0xfffffc10, v22
	v_cndmask_b32_e64 v17, 0, 1, s0
	v_cmp_eq_u32_e64 s0, 3, v23
	v_or_b32_e32 v19, 0x1000, v2
	v_lshl_or_b32 v22, v20, 12, v9
	v_or_b32_e32 v16, v16, v17
	s_or_b32 vcc_lo, s0, vcc_lo
	v_lshrrev_b32_e32 v17, v12, v19
	v_add_co_ci_u32_e32 v14, vcc_lo, 0, v14, vcc_lo
	v_cmp_gt_i32_e32 vcc_lo, 1, v20
	v_lshlrev_b32_e32 v12, v12, v17
	v_cndmask_b32_e32 v16, v22, v16, vcc_lo
	v_cmp_ne_u32_e32 vcc_lo, 0, v0
	v_cndmask_b32_e64 v0, 0, 1, vcc_lo
	v_cmp_ne_u32_e32 vcc_lo, v12, v19
	v_add_nc_u32_e32 v19, 0xfffffc10, v21
	v_and_b32_e32 v21, 7, v16
	v_lshl_or_b32 v0, v0, 9, 0x7c00
	v_cndmask_b32_e64 v12, 0, 1, vcc_lo
	v_cmp_gt_i32_e32 vcc_lo, 31, v18
	v_cmp_gt_i32_e64 s1, 1, v19
	v_cmp_eq_u32_e64 s0, 3, v21
	v_or_b32_e32 v12, v17, v12
	v_lshl_or_b32 v17, v19, 12, v2
	v_cndmask_b32_e32 v14, 0x7c00, v14, vcc_lo
	v_cmp_lt_i32_e32 vcc_lo, 5, v21
	v_cndmask_b32_e64 v12, v17, v12, s1
	v_cmp_eq_u32_e64 s1, 0x40f, v18
	s_or_b32 vcc_lo, s0, vcc_lo
	v_cndmask_b32_e64 v0, v14, v0, s1
	v_lshrrev_b32_e32 v14, 2, v16
	v_and_b32_e32 v16, 7, v12
	v_lshrrev_b32_e32 v12, 2, v12
	v_cmp_gt_i32_e64 s1, 31, v20
	v_add_co_ci_u32_e32 v14, vcc_lo, 0, v14, vcc_lo
	v_cmp_ne_u32_e32 vcc_lo, 0, v9
	v_cmp_eq_u32_e64 s0, 3, v16
	v_cndmask_b32_e64 v14, 0x7c00, v14, s1
	v_cndmask_b32_e64 v9, 0, 1, vcc_lo
	v_cmp_lt_i32_e32 vcc_lo, 5, v16
	v_lshl_or_b32 v9, v9, 9, 0x7c00
	s_or_b32 vcc_lo, s0, vcc_lo
	v_add_co_ci_u32_e32 v12, vcc_lo, 0, v12, vcc_lo
	v_cmp_ne_u32_e32 vcc_lo, 0, v2
	v_cndmask_b32_e64 v2, 0, 1, vcc_lo
	v_cmp_eq_u32_e32 vcc_lo, 0x40f, v20
	v_lshl_or_b32 v2, v2, 9, 0x7c00
	v_cndmask_b32_e32 v9, v14, v9, vcc_lo
	v_cmp_gt_i32_e32 vcc_lo, 31, v19
	v_and_or_b32 v14, 0x8000, v1, v0
	v_and_or_b32 v9, 0x8000, v10, v9
	v_cndmask_b32_e32 v12, 0x7c00, v12, vcc_lo
	v_cmp_eq_u32_e32 vcc_lo, 0x40f, v19
	v_lshl_or_b32 v4, v14, 16, v4
	v_and_b32_e32 v9, 0xffff, v9
	v_cndmask_b32_e32 v2, v12, v2, vcc_lo
	v_add_co_u32 v0, vcc_lo, v5, s3
	v_add_co_ci_u32_e32 v1, vcc_lo, s2, v6, vcc_lo
	v_and_or_b32 v10, 0x8000, v3, v2
	v_add_co_u32 v2, vcc_lo, v0, s7
	v_add_co_ci_u32_e32 v3, vcc_lo, s6, v1, vcc_lo
	v_lshl_or_b32 v12, v10, 16, v9
	v_add_co_u32 v9, vcc_lo, v2, s3
	v_add_co_ci_u32_e32 v10, vcc_lo, s2, v3, vcc_lo
	global_store_dword v[7:8], v13, off
	global_store_dword v[5:6], v15, off
	;; [unrolled: 1-line block ×5, first 2 shown]
.LBB0_18:
	s_endpgm
	.section	.rodata,"a",@progbits
	.p2align	6, 0x0
	.amdhsa_kernel bluestein_single_fwd_len1764_dim1_half_op_CI_CI
		.amdhsa_group_segment_fixed_size 7056
		.amdhsa_private_segment_fixed_size 0
		.amdhsa_kernarg_size 104
		.amdhsa_user_sgpr_count 6
		.amdhsa_user_sgpr_private_segment_buffer 1
		.amdhsa_user_sgpr_dispatch_ptr 0
		.amdhsa_user_sgpr_queue_ptr 0
		.amdhsa_user_sgpr_kernarg_segment_ptr 1
		.amdhsa_user_sgpr_dispatch_id 0
		.amdhsa_user_sgpr_flat_scratch_init 0
		.amdhsa_user_sgpr_private_segment_size 0
		.amdhsa_wavefront_size32 1
		.amdhsa_uses_dynamic_stack 0
		.amdhsa_system_sgpr_private_segment_wavefront_offset 0
		.amdhsa_system_sgpr_workgroup_id_x 1
		.amdhsa_system_sgpr_workgroup_id_y 0
		.amdhsa_system_sgpr_workgroup_id_z 0
		.amdhsa_system_sgpr_workgroup_info 0
		.amdhsa_system_vgpr_workitem_id 0
		.amdhsa_next_free_vgpr 150
		.amdhsa_next_free_sgpr 20
		.amdhsa_reserve_vcc 1
		.amdhsa_reserve_flat_scratch 0
		.amdhsa_float_round_mode_32 0
		.amdhsa_float_round_mode_16_64 0
		.amdhsa_float_denorm_mode_32 3
		.amdhsa_float_denorm_mode_16_64 3
		.amdhsa_dx10_clamp 1
		.amdhsa_ieee_mode 1
		.amdhsa_fp16_overflow 0
		.amdhsa_workgroup_processor_mode 1
		.amdhsa_memory_ordered 1
		.amdhsa_forward_progress 0
		.amdhsa_shared_vgpr_count 0
		.amdhsa_exception_fp_ieee_invalid_op 0
		.amdhsa_exception_fp_denorm_src 0
		.amdhsa_exception_fp_ieee_div_zero 0
		.amdhsa_exception_fp_ieee_overflow 0
		.amdhsa_exception_fp_ieee_underflow 0
		.amdhsa_exception_fp_ieee_inexact 0
		.amdhsa_exception_int_div_zero 0
	.end_amdhsa_kernel
	.text
.Lfunc_end0:
	.size	bluestein_single_fwd_len1764_dim1_half_op_CI_CI, .Lfunc_end0-bluestein_single_fwd_len1764_dim1_half_op_CI_CI
                                        ; -- End function
	.section	.AMDGPU.csdata,"",@progbits
; Kernel info:
; codeLenInByte = 24136
; NumSgprs: 22
; NumVgprs: 150
; ScratchSize: 0
; MemoryBound: 0
; FloatMode: 240
; IeeeMode: 1
; LDSByteSize: 7056 bytes/workgroup (compile time only)
; SGPRBlocks: 2
; VGPRBlocks: 18
; NumSGPRsForWavesPerEU: 22
; NumVGPRsForWavesPerEU: 150
; Occupancy: 6
; WaveLimiterHint : 1
; COMPUTE_PGM_RSRC2:SCRATCH_EN: 0
; COMPUTE_PGM_RSRC2:USER_SGPR: 6
; COMPUTE_PGM_RSRC2:TRAP_HANDLER: 0
; COMPUTE_PGM_RSRC2:TGID_X_EN: 1
; COMPUTE_PGM_RSRC2:TGID_Y_EN: 0
; COMPUTE_PGM_RSRC2:TGID_Z_EN: 0
; COMPUTE_PGM_RSRC2:TIDIG_COMP_CNT: 0
	.text
	.p2alignl 6, 3214868480
	.fill 48, 4, 3214868480
	.type	__hip_cuid_1e510ec5c9b61a8e,@object ; @__hip_cuid_1e510ec5c9b61a8e
	.section	.bss,"aw",@nobits
	.globl	__hip_cuid_1e510ec5c9b61a8e
__hip_cuid_1e510ec5c9b61a8e:
	.byte	0                               ; 0x0
	.size	__hip_cuid_1e510ec5c9b61a8e, 1

	.ident	"AMD clang version 19.0.0git (https://github.com/RadeonOpenCompute/llvm-project roc-6.4.0 25133 c7fe45cf4b819c5991fe208aaa96edf142730f1d)"
	.section	".note.GNU-stack","",@progbits
	.addrsig
	.addrsig_sym __hip_cuid_1e510ec5c9b61a8e
	.amdgpu_metadata
---
amdhsa.kernels:
  - .args:
      - .actual_access:  read_only
        .address_space:  global
        .offset:         0
        .size:           8
        .value_kind:     global_buffer
      - .actual_access:  read_only
        .address_space:  global
        .offset:         8
        .size:           8
        .value_kind:     global_buffer
      - .actual_access:  read_only
        .address_space:  global
        .offset:         16
        .size:           8
        .value_kind:     global_buffer
      - .actual_access:  read_only
        .address_space:  global
        .offset:         24
        .size:           8
        .value_kind:     global_buffer
      - .actual_access:  read_only
        .address_space:  global
        .offset:         32
        .size:           8
        .value_kind:     global_buffer
      - .offset:         40
        .size:           8
        .value_kind:     by_value
      - .address_space:  global
        .offset:         48
        .size:           8
        .value_kind:     global_buffer
      - .address_space:  global
        .offset:         56
        .size:           8
        .value_kind:     global_buffer
      - .address_space:  global
        .offset:         64
        .size:           8
        .value_kind:     global_buffer
      - .address_space:  global
        .offset:         72
        .size:           8
        .value_kind:     global_buffer
      - .offset:         80
        .size:           4
        .value_kind:     by_value
      - .address_space:  global
        .offset:         88
        .size:           8
        .value_kind:     global_buffer
      - .address_space:  global
        .offset:         96
        .size:           8
        .value_kind:     global_buffer
    .group_segment_fixed_size: 7056
    .kernarg_segment_align: 8
    .kernarg_segment_size: 104
    .language:       OpenCL C
    .language_version:
      - 2
      - 0
    .max_flat_workgroup_size: 126
    .name:           bluestein_single_fwd_len1764_dim1_half_op_CI_CI
    .private_segment_fixed_size: 0
    .sgpr_count:     22
    .sgpr_spill_count: 0
    .symbol:         bluestein_single_fwd_len1764_dim1_half_op_CI_CI.kd
    .uniform_work_group_size: 1
    .uses_dynamic_stack: false
    .vgpr_count:     150
    .vgpr_spill_count: 0
    .wavefront_size: 32
    .workgroup_processor_mode: 1
amdhsa.target:   amdgcn-amd-amdhsa--gfx1030
amdhsa.version:
  - 1
  - 2
...

	.end_amdgpu_metadata
